;; amdgpu-corpus repo=ROCm/rocFFT kind=compiled arch=gfx1030 opt=O3
	.text
	.amdgcn_target "amdgcn-amd-amdhsa--gfx1030"
	.amdhsa_code_object_version 6
	.protected	fft_rtc_fwd_len476_factors_17_2_7_2_wgs_102_tpt_34_halfLds_dp_op_CI_CI_sbrr_dirReg ; -- Begin function fft_rtc_fwd_len476_factors_17_2_7_2_wgs_102_tpt_34_halfLds_dp_op_CI_CI_sbrr_dirReg
	.globl	fft_rtc_fwd_len476_factors_17_2_7_2_wgs_102_tpt_34_halfLds_dp_op_CI_CI_sbrr_dirReg
	.p2align	8
	.type	fft_rtc_fwd_len476_factors_17_2_7_2_wgs_102_tpt_34_halfLds_dp_op_CI_CI_sbrr_dirReg,@function
fft_rtc_fwd_len476_factors_17_2_7_2_wgs_102_tpt_34_halfLds_dp_op_CI_CI_sbrr_dirReg: ; @fft_rtc_fwd_len476_factors_17_2_7_2_wgs_102_tpt_34_halfLds_dp_op_CI_CI_sbrr_dirReg
; %bb.0:
	s_clause 0x1
	s_load_dwordx4 s[16:19], s[4:5], 0x18
	s_load_dwordx4 s[12:15], s[4:5], 0x0
	v_mul_u32_u24_e32 v1, 0x788, v0
	v_mov_b32_e32 v4, 0
	v_mov_b32_e32 v5, 0
	s_load_dwordx4 s[8:11], s[4:5], 0x58
	s_waitcnt lgkmcnt(0)
	s_load_dwordx2 s[20:21], s[16:17], 0x0
	s_load_dwordx2 s[2:3], s[18:19], 0x0
	v_lshrrev_b32_e32 v2, 16, v1
	v_mov_b32_e32 v1, 0
	v_cmp_lt_u64_e64 s0, s[14:15], 2
	v_mov_b32_e32 v93, v5
	v_mov_b32_e32 v92, v4
	v_mad_u64_u32 v[68:69], null, s6, 3, v[2:3]
	v_mov_b32_e32 v69, v1
	s_and_b32 vcc_lo, exec_lo, s0
	v_mov_b32_e32 v97, v69
	v_mov_b32_e32 v96, v68
	s_cbranch_vccnz .LBB0_8
; %bb.1:
	s_load_dwordx2 s[0:1], s[4:5], 0x10
	v_mov_b32_e32 v4, 0
	v_mov_b32_e32 v5, 0
	s_add_u32 s6, s18, 8
	v_mov_b32_e32 v6, v68
	s_addc_u32 s7, s19, 0
	v_mov_b32_e32 v7, v69
	v_mov_b32_e32 v93, v5
	s_add_u32 s22, s16, 8
	v_mov_b32_e32 v92, v4
	s_addc_u32 s23, s17, 0
	s_mov_b64 s[26:27], 1
	s_waitcnt lgkmcnt(0)
	s_add_u32 s24, s0, 8
	s_addc_u32 s25, s1, 0
.LBB0_2:                                ; =>This Inner Loop Header: Depth=1
	s_load_dwordx2 s[28:29], s[24:25], 0x0
                                        ; implicit-def: $vgpr96_vgpr97
	s_mov_b32 s0, exec_lo
	s_waitcnt lgkmcnt(0)
	v_or_b32_e32 v2, s29, v7
	v_cmpx_ne_u64_e32 0, v[1:2]
	s_xor_b32 s1, exec_lo, s0
	s_cbranch_execz .LBB0_4
; %bb.3:                                ;   in Loop: Header=BB0_2 Depth=1
	v_cvt_f32_u32_e32 v2, s28
	v_cvt_f32_u32_e32 v3, s29
	s_sub_u32 s0, 0, s28
	s_subb_u32 s30, 0, s29
	v_fmac_f32_e32 v2, 0x4f800000, v3
	v_rcp_f32_e32 v2, v2
	v_mul_f32_e32 v2, 0x5f7ffffc, v2
	v_mul_f32_e32 v3, 0x2f800000, v2
	v_trunc_f32_e32 v3, v3
	v_fmac_f32_e32 v2, 0xcf800000, v3
	v_cvt_u32_f32_e32 v3, v3
	v_cvt_u32_f32_e32 v2, v2
	v_mul_lo_u32 v8, s0, v3
	v_mul_hi_u32 v9, s0, v2
	v_mul_lo_u32 v10, s30, v2
	v_add_nc_u32_e32 v8, v9, v8
	v_mul_lo_u32 v9, s0, v2
	v_add_nc_u32_e32 v8, v8, v10
	v_mul_hi_u32 v10, v2, v9
	v_mul_lo_u32 v11, v2, v8
	v_mul_hi_u32 v12, v2, v8
	v_mul_hi_u32 v13, v3, v9
	v_mul_lo_u32 v9, v3, v9
	v_mul_hi_u32 v14, v3, v8
	v_mul_lo_u32 v8, v3, v8
	v_add_co_u32 v10, vcc_lo, v10, v11
	v_add_co_ci_u32_e32 v11, vcc_lo, 0, v12, vcc_lo
	v_add_co_u32 v9, vcc_lo, v10, v9
	v_add_co_ci_u32_e32 v9, vcc_lo, v11, v13, vcc_lo
	v_add_co_ci_u32_e32 v10, vcc_lo, 0, v14, vcc_lo
	v_add_co_u32 v8, vcc_lo, v9, v8
	v_add_co_ci_u32_e32 v9, vcc_lo, 0, v10, vcc_lo
	v_add_co_u32 v2, vcc_lo, v2, v8
	v_add_co_ci_u32_e32 v3, vcc_lo, v3, v9, vcc_lo
	v_mul_hi_u32 v8, s0, v2
	v_mul_lo_u32 v10, s30, v2
	v_mul_lo_u32 v9, s0, v3
	v_add_nc_u32_e32 v8, v8, v9
	v_mul_lo_u32 v9, s0, v2
	v_add_nc_u32_e32 v8, v8, v10
	v_mul_hi_u32 v10, v2, v9
	v_mul_lo_u32 v11, v2, v8
	v_mul_hi_u32 v12, v2, v8
	v_mul_hi_u32 v13, v3, v9
	v_mul_lo_u32 v9, v3, v9
	v_mul_hi_u32 v14, v3, v8
	v_mul_lo_u32 v8, v3, v8
	v_add_co_u32 v10, vcc_lo, v10, v11
	v_add_co_ci_u32_e32 v11, vcc_lo, 0, v12, vcc_lo
	v_add_co_u32 v9, vcc_lo, v10, v9
	v_add_co_ci_u32_e32 v9, vcc_lo, v11, v13, vcc_lo
	v_add_co_ci_u32_e32 v10, vcc_lo, 0, v14, vcc_lo
	v_add_co_u32 v8, vcc_lo, v9, v8
	v_add_co_ci_u32_e32 v9, vcc_lo, 0, v10, vcc_lo
	v_add_co_u32 v8, vcc_lo, v2, v8
	v_add_co_ci_u32_e32 v10, vcc_lo, v3, v9, vcc_lo
	v_mul_hi_u32 v12, v6, v8
	v_mad_u64_u32 v[8:9], null, v7, v8, 0
	v_mad_u64_u32 v[2:3], null, v6, v10, 0
	v_mad_u64_u32 v[10:11], null, v7, v10, 0
	v_add_co_u32 v2, vcc_lo, v12, v2
	v_add_co_ci_u32_e32 v3, vcc_lo, 0, v3, vcc_lo
	v_add_co_u32 v2, vcc_lo, v2, v8
	v_add_co_ci_u32_e32 v2, vcc_lo, v3, v9, vcc_lo
	v_add_co_ci_u32_e32 v3, vcc_lo, 0, v11, vcc_lo
	v_add_co_u32 v8, vcc_lo, v2, v10
	v_add_co_ci_u32_e32 v9, vcc_lo, 0, v3, vcc_lo
	v_mul_lo_u32 v10, s29, v8
	v_mad_u64_u32 v[2:3], null, s28, v8, 0
	v_mul_lo_u32 v11, s28, v9
	v_sub_co_u32 v2, vcc_lo, v6, v2
	v_add3_u32 v3, v3, v11, v10
	v_sub_nc_u32_e32 v10, v7, v3
	v_subrev_co_ci_u32_e64 v10, s0, s29, v10, vcc_lo
	v_add_co_u32 v11, s0, v8, 2
	v_add_co_ci_u32_e64 v12, s0, 0, v9, s0
	v_sub_co_u32 v13, s0, v2, s28
	v_sub_co_ci_u32_e32 v3, vcc_lo, v7, v3, vcc_lo
	v_subrev_co_ci_u32_e64 v10, s0, 0, v10, s0
	v_cmp_le_u32_e32 vcc_lo, s28, v13
	v_cmp_eq_u32_e64 s0, s29, v3
	v_cndmask_b32_e64 v13, 0, -1, vcc_lo
	v_cmp_le_u32_e32 vcc_lo, s29, v10
	v_cndmask_b32_e64 v14, 0, -1, vcc_lo
	v_cmp_le_u32_e32 vcc_lo, s28, v2
	;; [unrolled: 2-line block ×3, first 2 shown]
	v_cndmask_b32_e64 v15, 0, -1, vcc_lo
	v_cmp_eq_u32_e32 vcc_lo, s29, v10
	v_cndmask_b32_e64 v2, v15, v2, s0
	v_cndmask_b32_e32 v10, v14, v13, vcc_lo
	v_add_co_u32 v13, vcc_lo, v8, 1
	v_add_co_ci_u32_e32 v14, vcc_lo, 0, v9, vcc_lo
	v_cmp_ne_u32_e32 vcc_lo, 0, v10
	v_cndmask_b32_e32 v3, v14, v12, vcc_lo
	v_cndmask_b32_e32 v10, v13, v11, vcc_lo
	v_cmp_ne_u32_e32 vcc_lo, 0, v2
	v_cndmask_b32_e32 v97, v9, v3, vcc_lo
	v_cndmask_b32_e32 v96, v8, v10, vcc_lo
.LBB0_4:                                ;   in Loop: Header=BB0_2 Depth=1
	s_andn2_saveexec_b32 s0, s1
	s_cbranch_execz .LBB0_6
; %bb.5:                                ;   in Loop: Header=BB0_2 Depth=1
	v_cvt_f32_u32_e32 v2, s28
	s_sub_i32 s1, 0, s28
	v_mov_b32_e32 v97, v1
	v_rcp_iflag_f32_e32 v2, v2
	v_mul_f32_e32 v2, 0x4f7ffffe, v2
	v_cvt_u32_f32_e32 v2, v2
	v_mul_lo_u32 v3, s1, v2
	v_mul_hi_u32 v3, v2, v3
	v_add_nc_u32_e32 v2, v2, v3
	v_mul_hi_u32 v2, v6, v2
	v_mul_lo_u32 v3, v2, s28
	v_add_nc_u32_e32 v8, 1, v2
	v_sub_nc_u32_e32 v3, v6, v3
	v_subrev_nc_u32_e32 v9, s28, v3
	v_cmp_le_u32_e32 vcc_lo, s28, v3
	v_cndmask_b32_e32 v3, v3, v9, vcc_lo
	v_cndmask_b32_e32 v2, v2, v8, vcc_lo
	v_cmp_le_u32_e32 vcc_lo, s28, v3
	v_add_nc_u32_e32 v8, 1, v2
	v_cndmask_b32_e32 v96, v2, v8, vcc_lo
.LBB0_6:                                ;   in Loop: Header=BB0_2 Depth=1
	s_or_b32 exec_lo, exec_lo, s0
	v_mul_lo_u32 v8, v97, s28
	v_mul_lo_u32 v9, v96, s29
	s_load_dwordx2 s[0:1], s[22:23], 0x0
	v_mad_u64_u32 v[2:3], null, v96, s28, 0
	s_load_dwordx2 s[28:29], s[6:7], 0x0
	s_add_u32 s26, s26, 1
	s_addc_u32 s27, s27, 0
	s_add_u32 s6, s6, 8
	s_addc_u32 s7, s7, 0
	s_add_u32 s22, s22, 8
	v_add3_u32 v3, v3, v9, v8
	v_sub_co_u32 v2, vcc_lo, v6, v2
	s_addc_u32 s23, s23, 0
	s_add_u32 s24, s24, 8
	v_sub_co_ci_u32_e32 v3, vcc_lo, v7, v3, vcc_lo
	s_addc_u32 s25, s25, 0
	s_waitcnt lgkmcnt(0)
	v_mul_lo_u32 v6, s0, v3
	v_mul_lo_u32 v7, s1, v2
	v_mad_u64_u32 v[4:5], null, s0, v2, v[4:5]
	v_mul_lo_u32 v3, s28, v3
	v_mul_lo_u32 v8, s29, v2
	v_mad_u64_u32 v[92:93], null, s28, v2, v[92:93]
	v_cmp_ge_u64_e64 s0, s[26:27], s[14:15]
	v_add3_u32 v5, v7, v5, v6
	v_add3_u32 v93, v8, v93, v3
	s_and_b32 vcc_lo, exec_lo, s0
	s_cbranch_vccnz .LBB0_8
; %bb.7:                                ;   in Loop: Header=BB0_2 Depth=1
	v_mov_b32_e32 v6, v96
	v_mov_b32_e32 v7, v97
	s_branch .LBB0_2
.LBB0_8:
	s_load_dwordx2 s[0:1], s[4:5], 0x28
	v_mul_hi_u32 v1, 0x7878788, v0
	s_lshl_b64 s[6:7], s[14:15], 3
                                        ; implicit-def: $vgpr6_vgpr7
                                        ; implicit-def: $vgpr22_vgpr23
                                        ; implicit-def: $vgpr30_vgpr31
                                        ; implicit-def: $vgpr34_vgpr35
                                        ; implicit-def: $vgpr38_vgpr39
                                        ; implicit-def: $vgpr42_vgpr43
                                        ; implicit-def: $vgpr46_vgpr47
                                        ; implicit-def: $vgpr10_vgpr11
                                        ; implicit-def: $vgpr14_vgpr15
                                        ; implicit-def: $vgpr50_vgpr51
                                        ; implicit-def: $vgpr54_vgpr55
                                        ; implicit-def: $vgpr18_vgpr19
                                        ; implicit-def: $vgpr26_vgpr27
                                        ; implicit-def: $vgpr58_vgpr59
                                        ; implicit-def: $vgpr62_vgpr63
                                        ; implicit-def: $vgpr66_vgpr67
                                        ; implicit-def: $vgpr2_vgpr3
	s_add_u32 s4, s18, s6
	s_addc_u32 s5, s19, s7
	v_mul_u32_u24_e32 v1, 34, v1
	v_sub_nc_u32_e32 v94, v0, v1
	s_waitcnt lgkmcnt(0)
	v_cmp_gt_u64_e32 vcc_lo, s[0:1], v[96:97]
	v_cmp_gt_u32_e64 s0, 28, v94
	s_and_b32 s1, vcc_lo, s0
	s_and_saveexec_b32 s14, s1
	s_cbranch_execz .LBB0_10
; %bb.9:
	s_add_u32 s6, s16, s6
	s_addc_u32 s7, s17, s7
	v_add_nc_u32_e32 v14, 28, v94
	s_load_dwordx2 s[6:7], s[6:7], 0x0
	v_mad_u64_u32 v[0:1], null, s20, v94, 0
	v_add_nc_u32_e32 v15, 56, v94
	v_mad_u64_u32 v[2:3], null, s20, v14, 0
	v_lshlrev_b64 v[4:5], 4, v[4:5]
	v_add_nc_u32_e32 v16, 0x54, v94
	v_mad_u64_u32 v[6:7], null, s20, v15, 0
	v_add_nc_u32_e32 v19, 0x70, v94
	v_or_b32_e32 v28, 0xe0, v94
	v_mad_u64_u32 v[12:13], null, s21, v94, v[1:2]
	v_mad_u64_u32 v[10:11], null, s20, v16, 0
	;; [unrolled: 1-line block ×3, first 2 shown]
	v_add_nc_u32_e32 v29, 0xfc, v94
	v_add_nc_u32_e32 v31, 0x150, v94
	s_waitcnt lgkmcnt(0)
	v_mul_lo_u32 v17, s7, v96
	v_mul_lo_u32 v18, s6, v97
	v_mad_u64_u32 v[8:9], null, s6, v96, 0
	v_mov_b32_e32 v1, v12
	v_mad_u64_u32 v[12:13], null, s21, v14, v[3:4]
	v_add_nc_u32_e32 v34, 0x16c, v94
	v_lshlrev_b64 v[0:1], 4, v[0:1]
	v_add3_u32 v9, v9, v18, v17
	v_add_nc_u32_e32 v17, 0xc4, v94
	v_mov_b32_e32 v3, v12
	v_lshlrev_b64 v[8:9], 4, v[8:9]
	v_mad_u64_u32 v[20:21], null, s20, v17, 0
	v_lshlrev_b64 v[2:3], 4, v[2:3]
	v_mad_u64_u32 v[13:14], null, s21, v15, v[7:8]
	v_add_co_u32 v7, s1, s8, v8
	v_add_co_ci_u32_e64 v8, s1, s9, v9, s1
	v_add_nc_u32_e32 v15, 0x8c, v94
	v_add_co_u32 v42, s1, v7, v4
	v_add_co_ci_u32_e64 v43, s1, v8, v5, s1
	v_mov_b32_e32 v7, v13
	v_add_co_u32 v0, s1, v42, v0
	v_add_co_ci_u32_e64 v1, s1, v43, v1, s1
	v_add_co_u32 v4, s1, v42, v2
	v_add_co_ci_u32_e64 v5, s1, v43, v3, s1
	v_mad_u64_u32 v[2:3], null, s21, v16, v[11:12]
	v_mad_u64_u32 v[8:9], null, s20, v19, 0
	;; [unrolled: 1-line block ×3, first 2 shown]
	v_add_nc_u32_e32 v16, 0xa8, v94
	v_mov_b32_e32 v11, v2
	s_clause 0x1
	global_load_dwordx4 v[0:3], v[0:1], off
	global_load_dwordx4 v[64:67], v[4:5], off
	v_lshlrev_b64 v[4:5], 4, v[6:7]
	v_mov_b32_e32 v6, v9
	v_mov_b32_e32 v7, v13
	v_lshlrev_b64 v[10:11], 4, v[10:11]
	v_add_co_u32 v4, s1, v42, v4
	v_mad_u64_u32 v[13:14], null, s21, v19, v[6:7]
	v_mad_u64_u32 v[6:7], null, s21, v15, v[7:8]
	;; [unrolled: 1-line block ×3, first 2 shown]
	v_add_co_ci_u32_e64 v5, s1, v43, v5, s1
	v_mov_b32_e32 v9, v13
	v_mov_b32_e32 v13, v6
	v_add_co_u32 v6, s1, v42, v10
	v_lshlrev_b64 v[8:9], 4, v[8:9]
	v_add_co_ci_u32_e64 v7, s1, v43, v11, s1
	v_lshlrev_b64 v[11:12], 4, v[12:13]
	v_mov_b32_e32 v10, v15
	v_add_co_u32 v8, s1, v42, v8
	v_add_co_ci_u32_e64 v9, s1, v43, v9, s1
	v_mad_u64_u32 v[15:16], null, s21, v16, v[10:11]
	v_add_co_u32 v10, s1, v42, v11
	v_add_co_ci_u32_e64 v11, s1, v43, v12, s1
	v_mov_b32_e32 v12, v21
	v_mad_u64_u32 v[12:13], null, s21, v17, v[12:13]
	s_clause 0x3
	global_load_dwordx4 v[60:63], v[4:5], off
	global_load_dwordx4 v[56:59], v[6:7], off
	;; [unrolled: 1-line block ×4, first 2 shown]
	v_mad_u64_u32 v[7:8], null, s20, v29, 0
	v_mov_b32_e32 v6, v23
	v_lshlrev_b64 v[4:5], 4, v[14:15]
	v_mov_b32_e32 v21, v12
	v_mad_u64_u32 v[9:10], null, s21, v28, v[6:7]
	v_add_nc_u32_e32 v28, 0x118, v94
	v_lshlrev_b64 v[10:11], 4, v[20:21]
	v_mov_b32_e32 v6, v8
	v_add_co_u32 v4, s1, v42, v4
	v_mad_u64_u32 v[12:13], null, s20, v28, 0
	v_add_co_ci_u32_e64 v5, s1, v43, v5, s1
	v_mov_b32_e32 v23, v9
	v_mad_u64_u32 v[8:9], null, s21, v29, v[6:7]
	v_add_co_u32 v9, s1, v42, v10
	v_add_co_ci_u32_e64 v10, s1, v43, v11, s1
	v_add_nc_u32_e32 v11, 0x134, v94
	v_mov_b32_e32 v6, v13
	v_lshlrev_b64 v[14:15], 4, v[22:23]
	s_clause 0x1
	global_load_dwordx4 v[52:55], v[4:5], off
	global_load_dwordx4 v[48:51], v[9:10], off
	v_mad_u64_u32 v[20:21], null, s20, v11, 0
	v_mad_u64_u32 v[22:23], null, s21, v28, v[6:7]
	v_lshlrev_b64 v[6:7], 4, v[7:8]
	v_add_co_u32 v14, s1, v42, v14
	v_add_co_ci_u32_e64 v15, s1, v43, v15, s1
	v_mov_b32_e32 v8, v21
	v_mov_b32_e32 v13, v22
	v_mad_u64_u32 v[22:23], null, s20, v31, 0
	v_add_co_u32 v6, s1, v42, v6
	v_mad_u64_u32 v[28:29], null, s21, v11, v[8:9]
	v_mad_u64_u32 v[29:30], null, s20, v34, 0
	v_lshlrev_b64 v[11:12], 4, v[12:13]
	v_mov_b32_e32 v8, v23
	v_add_co_ci_u32_e64 v7, s1, v43, v7, s1
	v_mov_b32_e32 v21, v28
	v_add_nc_u32_e32 v13, 0x188, v94
	v_mad_u64_u32 v[31:32], null, s21, v31, v[8:9]
	v_add_co_u32 v32, s1, v42, v11
	v_mov_b32_e32 v8, v30
	v_add_co_ci_u32_e64 v33, s1, v43, v12, s1
	v_lshlrev_b64 v[11:12], 4, v[20:21]
	v_add_nc_u32_e32 v28, 0x1a4, v94
	v_mad_u64_u32 v[20:21], null, s21, v34, v[8:9]
	v_mad_u64_u32 v[34:35], null, s20, v13, 0
	v_mov_b32_e32 v23, v31
	v_add_co_u32 v36, s1, v42, v11
	v_or_b32_e32 v31, 0x1c0, v94
	v_add_co_ci_u32_e64 v37, s1, v43, v12, s1
	v_mad_u64_u32 v[11:12], null, s20, v28, 0
	v_mov_b32_e32 v8, v35
	v_mad_u64_u32 v[38:39], null, s20, v31, 0
	v_lshlrev_b64 v[21:22], 4, v[22:23]
	v_mov_b32_e32 v30, v20
	v_mad_u64_u32 v[40:41], null, s21, v13, v[8:9]
	v_mov_b32_e32 v8, v12
	v_add_co_u32 v20, s1, v42, v21
	v_mov_b32_e32 v12, v39
	v_add_co_ci_u32_e64 v21, s1, v43, v22, s1
	v_mad_u64_u32 v[22:23], null, s21, v28, v[8:9]
	v_lshlrev_b64 v[28:29], 4, v[29:30]
	v_mad_u64_u32 v[30:31], null, s21, v31, v[12:13]
	v_mov_b32_e32 v35, v40
	v_mov_b32_e32 v12, v22
	v_add_co_u32 v22, s1, v42, v28
	v_lshlrev_b64 v[4:5], 4, v[34:35]
	v_mov_b32_e32 v39, v30
	v_lshlrev_b64 v[8:9], 4, v[11:12]
	v_add_co_ci_u32_e64 v23, s1, v43, v29, s1
	v_add_co_u32 v4, s1, v42, v4
	v_lshlrev_b64 v[10:11], 4, v[38:39]
	v_add_co_ci_u32_e64 v5, s1, v43, v5, s1
	v_add_co_u32 v69, s1, v42, v8
	v_add_co_ci_u32_e64 v70, s1, v43, v9, s1
	v_add_co_u32 v71, s1, v42, v10
	v_add_co_ci_u32_e64 v72, s1, v43, v11, s1
	s_clause 0x8
	global_load_dwordx4 v[12:15], v[14:15], off
	global_load_dwordx4 v[8:11], v[6:7], off
	;; [unrolled: 1-line block ×9, first 2 shown]
.LBB0_10:
	s_or_b32 exec_lo, exec_lo, s14
	v_mul_hi_u32 v69, 0xaaaaaaab, v68
	v_lshrrev_b32_e32 v69, 1, v69
	v_lshl_add_u32 v69, v69, 1, v69
	v_sub_nc_u32_e32 v68, v68, v69
	v_mul_u32_u24_e32 v68, 0x1dc, v68
	v_lshlrev_b32_e32 v95, 3, v68
	s_and_saveexec_b32 s1, s0
	s_cbranch_execz .LBB0_12
; %bb.11:
	s_waitcnt vmcnt(0)
	v_add_f64 v[68:69], v[66:67], -v[6:7]
	s_mov_b32 s14, 0x7c9e640b
	s_mov_b32 s15, 0x3feca52d
	;; [unrolled: 1-line block ×4, first 2 shown]
	v_add_f64 v[70:71], v[4:5], v[64:65]
	v_add_f64 v[76:77], v[62:63], -v[22:23]
	s_mov_b32 s8, 0x2b2883cd
	s_mov_b32 s16, 0x6c9a05f6
	;; [unrolled: 1-line block ×8, first 2 shown]
	v_add_f64 v[72:73], v[20:21], v[60:61]
	s_mov_b32 s6, 0x6ed5f1bb
	s_mov_b32 s24, 0xeb564b22
	;; [unrolled: 1-line block ×6, first 2 shown]
	v_mul_f64 v[74:75], v[68:69], s[20:21]
	v_mul_f64 v[80:81], v[68:69], s[36:37]
	s_mov_b32 s25, 0x3fefdd0d
	s_mov_b32 s23, 0x3fe7a5f6
	s_mov_b32 s35, 0xbfefdd0d
	s_mov_b32 s31, 0xbfeec746
	v_mul_f64 v[100:101], v[76:77], s[16:17]
	s_mov_b32 s34, s24
	s_mov_b32 s39, 0xbfe0d888
	v_add_f64 v[82:83], v[58:59], -v[30:31]
	v_mul_f64 v[84:85], v[68:69], s[30:31]
	v_mul_f64 v[86:87], v[68:69], s[34:35]
	;; [unrolled: 1-line block ×5, first 2 shown]
	v_add_f64 v[132:133], v[64:65], v[0:1]
	s_mov_b32 s18, 0x3259b75e
	s_mov_b32 s26, 0xacd6c6b4
	;; [unrolled: 1-line block ×6, first 2 shown]
	v_fma_f64 v[112:113], v[70:71], s[8:9], -v[74:75]
	v_fma_f64 v[114:115], v[70:71], s[22:23], -v[80:81]
	s_mov_b32 s49, 0x3fc7851a
	s_mov_b32 s41, 0xbfd183b1
	;; [unrolled: 1-line block ×4, first 2 shown]
	v_fma_f64 v[126:127], v[72:73], s[6:7], -v[100:101]
	s_mov_b32 s43, 0xbfeb34fa
	s_mov_b32 s48, s26
	;; [unrolled: 1-line block ×4, first 2 shown]
	v_add_f64 v[78:79], v[28:29], v[56:57]
	v_mul_f64 v[104:105], v[76:77], s[46:47]
	v_fma_f64 v[116:117], v[70:71], s[40:41], -v[84:85]
	v_mul_f64 v[90:91], v[82:83], s[48:49]
	v_mul_f64 v[106:107], v[76:77], s[26:27]
	v_mul_f64 v[118:119], v[76:77], s[14:15]
	v_fma_f64 v[120:121], v[70:71], s[18:19], -v[86:87]
	v_fma_f64 v[122:123], v[70:71], s[42:43], -v[108:109]
	v_mul_f64 v[124:125], v[76:77], s[44:45]
	v_fma_f64 v[128:129], v[70:71], s[6:7], -v[110:111]
	v_fma_f64 v[130:131], v[72:73], s[18:19], -v[102:103]
	v_add_f64 v[112:113], v[0:1], v[112:113]
	v_add_f64 v[114:115], v[0:1], v[114:115]
	s_mov_b32 s48, 0x7faef3
	s_mov_b32 s52, 0x5d8e7cdc
	;; [unrolled: 1-line block ×6, first 2 shown]
	v_add_f64 v[98:99], v[26:27], -v[34:35]
	v_mul_f64 v[136:137], v[82:83], s[28:29]
	v_mul_f64 v[142:143], v[82:83], s[44:45]
	;; [unrolled: 1-line block ×3, first 2 shown]
	v_fma_f64 v[138:139], v[72:73], s[42:43], -v[104:105]
	v_add_f64 v[116:117], v[0:1], v[116:117]
	v_fma_f64 v[148:149], v[78:79], s[48:49], -v[90:91]
	v_fma_f64 v[144:145], v[72:73], s[48:49], -v[106:107]
	;; [unrolled: 1-line block ×3, first 2 shown]
	v_add_f64 v[120:121], v[0:1], v[120:121]
	v_add_f64 v[122:123], v[0:1], v[122:123]
	v_fma_f64 v[154:155], v[72:73], s[40:41], -v[124:125]
	v_add_f64 v[128:129], v[0:1], v[128:129]
	v_mul_f64 v[88:89], v[82:83], s[16:17]
	v_add_f64 v[112:113], v[126:127], v[112:113]
	v_add_f64 v[126:127], v[60:61], v[132:133]
	;; [unrolled: 1-line block ×3, first 2 shown]
	v_mul_f64 v[130:131], v[82:83], s[54:55]
	s_mov_b32 s50, 0x370991
	s_mov_b32 s57, 0x3fe9895b
	;; [unrolled: 1-line block ×4, first 2 shown]
	v_add_f64 v[134:135], v[32:33], v[24:25]
	v_add_f64 v[132:133], v[18:19], -v[38:39]
	v_mul_f64 v[160:161], v[98:99], s[20:21]
	v_fma_f64 v[162:163], v[78:79], s[22:23], -v[136:137]
	v_fma_f64 v[164:165], v[78:79], s[40:41], -v[142:143]
	v_add_f64 v[116:117], v[138:139], v[116:117]
	v_mul_f64 v[138:139], v[98:99], s[52:53]
	v_mul_f64 v[140:141], v[98:99], s[44:45]
	;; [unrolled: 1-line block ×3, first 2 shown]
	v_add_f64 v[120:121], v[144:145], v[120:121]
	v_add_f64 v[122:123], v[146:147], v[122:123]
	v_mul_f64 v[144:145], v[98:99], s[56:57]
	v_fma_f64 v[146:147], v[78:79], s[18:19], -v[150:151]
	v_add_f64 v[128:129], v[154:155], v[128:129]
	v_add_f64 v[112:113], v[148:149], v[112:113]
	;; [unrolled: 1-line block ×3, first 2 shown]
	v_mul_f64 v[148:149], v[98:99], s[38:39]
	v_fma_f64 v[154:155], v[78:79], s[50:51], -v[130:131]
	v_fma_f64 v[152:153], v[78:79], s[6:7], -v[88:89]
	v_add_f64 v[158:159], v[36:37], v[16:17]
	v_add_f64 v[174:175], v[54:55], -v[42:43]
	v_mul_f64 v[172:173], v[68:69], s[26:27]
	v_add_f64 v[186:187], v[40:41], v[52:53]
	v_mul_f64 v[180:181], v[132:133], s[54:55]
	v_fma_f64 v[176:177], v[134:135], s[8:9], -v[160:161]
	v_mul_f64 v[168:169], v[132:133], s[28:29]
	v_mul_f64 v[182:183], v[76:77], s[52:53]
	v_add_f64 v[116:117], v[162:163], v[116:117]
	v_fma_f64 v[162:163], v[134:135], s[50:51], -v[138:139]
	v_fma_f64 v[166:167], v[134:135], s[40:41], -v[140:141]
	;; [unrolled: 1-line block ×3, first 2 shown]
	v_add_f64 v[120:121], v[164:165], v[120:121]
	v_mul_f64 v[188:189], v[132:133], s[24:25]
	v_fma_f64 v[164:165], v[134:135], s[6:7], -v[144:145]
	v_add_f64 v[122:123], v[146:147], v[122:123]
	v_mul_f64 v[146:147], v[132:133], s[20:21]
	v_add_f64 v[206:207], v[44:45], v[48:49]
	v_add_f64 v[126:127], v[24:25], v[126:127]
	v_fma_f64 v[184:185], v[134:135], s[42:43], -v[148:149]
	v_add_f64 v[128:129], v[154:155], v[128:129]
	v_add_f64 v[114:115], v[152:153], v[114:115]
	v_mul_f64 v[152:153], v[132:133], s[46:47]
	v_mul_f64 v[198:199], v[174:175], s[38:39]
	;; [unrolled: 1-line block ×3, first 2 shown]
	v_fma_f64 v[108:109], v[70:71], s[42:43], v[108:109]
	v_fma_f64 v[196:197], v[158:159], s[50:51], -v[180:181]
	v_mul_f64 v[190:191], v[174:175], s[54:55]
	v_fma_f64 v[154:155], v[158:159], s[22:23], -v[168:169]
	v_mul_f64 v[202:203], v[82:83], s[38:39]
	v_add_f64 v[116:117], v[176:177], v[116:117]
	v_add_f64 v[176:177], v[50:51], -v[46:47]
	v_add_f64 v[112:113], v[166:167], v[112:113]
	v_fma_f64 v[110:111], v[70:71], s[6:7], v[110:111]
	v_add_f64 v[120:121], v[162:163], v[120:121]
	v_mul_f64 v[76:77], v[76:77], s[36:37]
	v_fma_f64 v[84:85], v[70:71], s[40:41], v[84:85]
	v_add_f64 v[122:123], v[164:165], v[122:123]
	v_fma_f64 v[164:165], v[158:159], s[8:9], -v[146:147]
	v_fma_f64 v[118:119], v[72:73], s[8:9], v[118:119]
	v_add_f64 v[126:127], v[16:17], v[126:127]
	v_mul_f64 v[204:205], v[174:175], s[36:37]
	v_add_f64 v[128:129], v[184:185], v[128:129]
	v_mul_f64 v[184:185], v[174:175], s[26:27]
	v_fma_f64 v[166:167], v[158:159], s[42:43], -v[152:153]
	v_add_f64 v[114:115], v[170:171], v[114:115]
	v_fma_f64 v[170:171], v[70:71], s[48:49], v[172:173]
	v_fma_f64 v[212:213], v[186:187], s[42:43], -v[198:199]
	v_add_f64 v[108:109], v[0:1], v[108:109]
	v_fma_f64 v[200:201], v[186:187], s[50:51], -v[190:191]
	v_fma_f64 v[86:87], v[70:71], s[18:19], v[86:87]
	v_fma_f64 v[74:75], v[70:71], s[8:9], v[74:75]
	;; [unrolled: 1-line block ×3, first 2 shown]
	v_mul_f64 v[214:215], v[176:177], s[56:57]
	v_add_f64 v[112:113], v[154:155], v[112:113]
	v_fma_f64 v[154:155], v[70:71], s[48:49], -v[172:173]
	v_fma_f64 v[172:173], v[72:73], s[50:51], v[182:183]
	v_fma_f64 v[182:183], v[72:73], s[50:51], -v[182:183]
	v_fma_f64 v[124:125], v[72:73], s[40:41], v[124:125]
	v_add_f64 v[122:123], v[196:197], v[122:123]
	v_add_f64 v[120:121], v[164:165], v[120:121]
	;; [unrolled: 1-line block ×4, first 2 shown]
	v_mul_f64 v[82:83], v[82:83], s[20:21]
	v_fma_f64 v[104:105], v[72:73], s[42:43], v[104:105]
	v_fma_f64 v[216:217], v[186:187], s[48:49], -v[184:185]
	v_add_f64 v[84:85], v[0:1], v[84:85]
	v_add_f64 v[114:115], v[166:167], v[114:115]
	;; [unrolled: 1-line block ×3, first 2 shown]
	v_fma_f64 v[166:167], v[158:159], s[18:19], -v[188:189]
	v_add_f64 v[108:109], v[118:119], v[108:109]
	v_fma_f64 v[106:107], v[72:73], s[48:49], v[106:107]
	v_add_f64 v[86:87], v[0:1], v[86:87]
	v_fma_f64 v[100:101], v[72:73], s[6:7], v[100:101]
	;; [unrolled: 2-line block ×3, first 2 shown]
	v_add_f64 v[112:113], v[200:201], v[112:113]
	v_add_f64 v[154:155], v[0:1], v[154:155]
	v_fma_f64 v[200:201], v[186:187], s[22:23], -v[204:205]
	v_add_f64 v[80:81], v[0:1], v[80:81]
	v_mul_f64 v[178:179], v[132:133], s[26:27]
	v_fma_f64 v[90:91], v[78:79], s[48:49], v[90:91]
	v_add_f64 v[120:121], v[212:213], v[120:121]
	v_fma_f64 v[212:213], v[206:207], s[6:7], -v[214:215]
	v_add_f64 v[126:127], v[48:49], v[126:127]
	v_add_f64 v[110:111], v[124:125], v[110:111]
	v_fma_f64 v[124:125], v[78:79], s[50:51], v[130:131]
	v_add_f64 v[122:123], v[216:217], v[122:123]
	v_fma_f64 v[216:217], v[70:71], s[50:51], -v[68:69]
	v_fma_f64 v[68:69], v[70:71], s[50:51], v[68:69]
	v_add_f64 v[170:171], v[172:173], v[170:171]
	v_add_f64 v[128:129], v[166:167], v[128:129]
	v_fma_f64 v[166:167], v[78:79], s[42:43], v[202:203]
	v_mul_f64 v[172:173], v[98:99], s[28:29]
	v_fma_f64 v[202:203], v[78:79], s[42:43], -v[202:203]
	v_mul_f64 v[98:99], v[98:99], s[34:35]
	v_add_f64 v[84:85], v[104:105], v[84:85]
	v_fma_f64 v[104:105], v[78:79], s[22:23], v[136:137]
	v_add_f64 v[86:87], v[106:107], v[86:87]
	v_add_f64 v[154:155], v[182:183], v[154:155]
	v_fma_f64 v[106:107], v[78:79], s[40:41], v[142:143]
	v_add_f64 v[74:75], v[100:101], v[74:75]
	v_add_f64 v[80:81], v[102:103], v[80:81]
	v_fma_f64 v[88:89], v[78:79], s[6:7], v[88:89]
	v_fma_f64 v[192:193], v[158:159], s[48:49], -v[178:179]
	v_add_f64 v[120:121], v[212:213], v[120:121]
	v_add_f64 v[126:127], v[12:13], v[126:127]
	v_mul_f64 v[162:163], v[174:175], s[44:45]
	v_mul_f64 v[194:195], v[174:175], s[24:25]
	v_fma_f64 v[102:103], v[134:135], s[6:7], v[144:145]
	v_add_f64 v[212:213], v[0:1], v[216:217]
	v_fma_f64 v[216:217], v[72:73], s[22:23], -v[76:77]
	v_fma_f64 v[72:73], v[72:73], s[22:23], v[76:77]
	v_add_f64 v[0:1], v[0:1], v[68:69]
	v_add_f64 v[166:167], v[166:167], v[170:171]
	v_fma_f64 v[170:171], v[134:135], s[22:23], v[172:173]
	v_fma_f64 v[76:77], v[78:79], s[8:9], -v[82:83]
	v_add_f64 v[128:129], v[200:201], v[128:129]
	v_mul_f64 v[200:201], v[132:133], s[16:17]
	v_add_f64 v[84:85], v[104:105], v[84:85]
	v_fma_f64 v[104:105], v[134:135], s[8:9], v[160:161]
	v_add_f64 v[154:155], v[202:203], v[154:155]
	v_add_f64 v[86:87], v[106:107], v[86:87]
	v_fma_f64 v[106:107], v[134:135], s[50:51], v[138:139]
	v_add_f64 v[74:75], v[90:91], v[74:75]
	v_fma_f64 v[90:91], v[134:135], s[40:41], v[140:141]
	;; [unrolled: 2-line block ×4, first 2 shown]
	v_fma_f64 v[78:79], v[78:79], s[8:9], v[82:83]
	v_add_f64 v[116:117], v[192:193], v[116:117]
	v_fma_f64 v[192:193], v[186:187], s[40:41], -v[162:163]
	v_add_f64 v[130:131], v[216:217], v[212:213]
	v_mul_f64 v[210:211], v[176:177], s[14:15]
	v_add_f64 v[0:1], v[72:73], v[0:1]
	v_fma_f64 v[164:165], v[186:187], s[18:19], -v[194:195]
	v_add_f64 v[70:71], v[170:171], v[166:167]
	v_fma_f64 v[170:171], v[134:135], s[22:23], -v[172:173]
	v_mul_f64 v[196:197], v[176:177], s[54:55]
	v_fma_f64 v[142:143], v[158:159], s[6:7], -v[200:201]
	v_fma_f64 v[166:167], v[158:159], s[6:7], v[200:201]
	v_add_f64 v[84:85], v[104:105], v[84:85]
	v_mul_f64 v[140:141], v[174:175], s[16:17]
	v_fma_f64 v[144:145], v[158:159], s[8:9], v[146:147]
	v_add_f64 v[86:87], v[106:107], v[86:87]
	v_fma_f64 v[146:147], v[158:159], s[22:23], v[168:169]
	v_add_f64 v[74:75], v[90:91], v[74:75]
	v_mul_f64 v[208:209], v[176:177], s[34:35]
	v_add_f64 v[80:81], v[88:89], v[80:81]
	v_add_f64 v[118:119], v[44:45], v[118:119]
	;; [unrolled: 1-line block ×4, first 2 shown]
	v_fma_f64 v[110:111], v[134:135], s[42:43], v[148:149]
	v_fma_f64 v[124:125], v[134:135], s[18:19], -v[98:99]
	v_add_f64 v[76:77], v[76:77], v[130:131]
	v_mul_f64 v[130:131], v[132:133], s[30:31]
	v_fma_f64 v[98:99], v[134:135], s[18:19], v[98:99]
	v_add_f64 v[0:1], v[78:79], v[0:1]
	v_fma_f64 v[134:135], v[158:159], s[18:19], v[188:189]
	v_add_f64 v[136:137], v[170:171], v[154:155]
	v_fma_f64 v[88:89], v[158:159], s[42:43], v[152:153]
	v_add_f64 v[68:69], v[14:15], -v[10:11]
	v_add_f64 v[114:115], v[192:193], v[114:115]
	v_fma_f64 v[192:193], v[206:207], s[8:9], -v[210:211]
	v_add_f64 v[116:117], v[164:165], v[116:117]
	v_fma_f64 v[164:165], v[206:207], s[50:51], -v[196:197]
	v_mul_f64 v[220:221], v[176:177], s[28:29]
	v_mul_f64 v[182:183], v[176:177], s[26:27]
	v_add_f64 v[70:71], v[166:167], v[70:71]
	v_mul_f64 v[150:151], v[176:177], s[30:31]
	v_fma_f64 v[152:153], v[186:187], s[48:49], v[184:185]
	v_add_f64 v[118:119], v[40:41], v[118:119]
	v_add_f64 v[100:101], v[102:103], v[100:101]
	v_mul_f64 v[102:103], v[174:175], s[14:15]
	v_add_f64 v[108:109], v[110:111], v[108:109]
	v_fma_f64 v[110:111], v[158:159], s[50:51], v[180:181]
	v_add_f64 v[76:77], v[124:125], v[76:77]
	v_fma_f64 v[104:105], v[158:159], s[40:41], -v[130:131]
	v_fma_f64 v[130:131], v[158:159], s[40:41], v[130:131]
	v_add_f64 v[0:1], v[98:99], v[0:1]
	v_mul_f64 v[154:155], v[176:177], s[38:39]
	v_add_f64 v[136:137], v[142:143], v[136:137]
	v_fma_f64 v[142:143], v[158:159], s[48:49], v[178:179]
	v_add_f64 v[86:87], v[144:145], v[86:87]
	v_fma_f64 v[144:145], v[186:187], s[42:43], v[198:199]
	;; [unrolled: 2-line block ×4, first 2 shown]
	v_fma_f64 v[218:219], v[206:207], s[18:19], -v[208:209]
	v_add_f64 v[82:83], v[8:9], v[12:13]
	v_mul_f64 v[72:73], v[68:69], s[38:39]
	v_mul_f64 v[126:127], v[68:69], s[52:53]
	v_add_f64 v[118:119], v[36:37], v[118:119]
	v_mul_f64 v[132:133], v[68:69], s[16:17]
	v_fma_f64 v[148:149], v[186:187], s[8:9], v[102:103]
	v_fma_f64 v[102:103], v[186:187], s[8:9], -v[102:103]
	v_add_f64 v[100:101], v[110:111], v[100:101]
	v_add_f64 v[108:109], v[134:135], v[108:109]
	v_fma_f64 v[134:135], v[186:187], s[22:23], v[204:205]
	v_add_f64 v[76:77], v[104:105], v[76:77]
	v_fma_f64 v[104:105], v[186:187], s[6:7], -v[140:141]
	v_fma_f64 v[140:141], v[186:187], s[6:7], v[140:141]
	v_add_f64 v[0:1], v[130:131], v[0:1]
	v_add_f64 v[84:85], v[142:143], v[84:85]
	v_fma_f64 v[142:143], v[186:187], s[18:19], v[194:195]
	v_mul_f64 v[138:139], v[68:69], s[28:29]
	v_add_f64 v[114:115], v[192:193], v[114:115]
	v_add_f64 v[116:117], v[164:165], v[116:117]
	v_fma_f64 v[164:165], v[206:207], s[22:23], -v[220:221]
	v_fma_f64 v[192:193], v[206:207], s[48:49], -v[182:183]
	v_mul_f64 v[98:99], v[68:69], s[30:31]
	v_mul_f64 v[110:111], v[68:69], s[14:15]
	;; [unrolled: 1-line block ×4, first 2 shown]
	v_add_f64 v[118:119], v[32:33], v[118:119]
	v_add_f64 v[86:87], v[144:145], v[86:87]
	;; [unrolled: 1-line block ×3, first 2 shown]
	v_fma_f64 v[148:149], v[206:207], s[40:41], v[150:151]
	v_add_f64 v[102:103], v[102:103], v[136:137]
	v_fma_f64 v[136:137], v[206:207], s[40:41], -v[150:151]
	v_add_f64 v[100:101], v[152:153], v[100:101]
	v_fma_f64 v[150:151], v[206:207], s[22:23], v[220:221]
	v_add_f64 v[108:109], v[134:135], v[108:109]
	v_fma_f64 v[134:135], v[206:207], s[48:49], v[182:183]
	v_add_f64 v[76:77], v[104:105], v[76:77]
	v_fma_f64 v[104:105], v[206:207], s[42:43], -v[154:155]
	v_add_f64 v[84:85], v[142:143], v[84:85]
	v_fma_f64 v[142:143], v[206:207], s[50:51], v[196:197]
	v_fma_f64 v[144:145], v[206:207], s[6:7], v[214:215]
	v_add_f64 v[74:75], v[146:147], v[74:75]
	v_fma_f64 v[146:147], v[206:207], s[18:19], v[208:209]
	v_add_f64 v[80:81], v[88:89], v[80:81]
	v_fma_f64 v[88:89], v[206:207], s[8:9], v[210:211]
	v_fma_f64 v[154:155], v[206:207], s[42:43], v[154:155]
	v_add_f64 v[0:1], v[140:141], v[0:1]
	v_add_f64 v[112:113], v[218:219], v[112:113]
	;; [unrolled: 1-line block ×3, first 2 shown]
	v_fma_f64 v[78:79], v[82:83], s[42:43], -v[72:73]
	v_fma_f64 v[124:125], v[82:83], s[50:51], -v[126:127]
	;; [unrolled: 1-line block ×4, first 2 shown]
	v_add_f64 v[122:123], v[164:165], v[122:123]
	v_add_f64 v[128:129], v[192:193], v[128:129]
	v_fma_f64 v[152:153], v[82:83], s[40:41], -v[98:99]
	v_fma_f64 v[140:141], v[82:83], s[8:9], -v[110:111]
	v_add_f64 v[70:71], v[148:149], v[70:71]
	v_fma_f64 v[148:149], v[82:83], s[18:19], v[130:131]
	v_add_f64 v[102:103], v[136:137], v[102:103]
	v_fma_f64 v[130:131], v[82:83], s[18:19], -v[130:131]
	v_add_f64 v[100:101], v[150:151], v[100:101]
	v_fma_f64 v[98:99], v[82:83], s[40:41], v[98:99]
	v_add_f64 v[108:109], v[134:135], v[108:109]
	v_fma_f64 v[110:111], v[82:83], s[8:9], v[110:111]
	v_add_f64 v[76:77], v[104:105], v[76:77]
	v_fma_f64 v[104:105], v[82:83], s[48:49], -v[68:69]
	v_add_f64 v[84:85], v[142:143], v[84:85]
	v_fma_f64 v[132:133], v[82:83], s[6:7], v[132:133]
	v_add_f64 v[86:87], v[144:145], v[86:87]
	v_add_f64 v[118:119], v[20:21], v[118:119]
	v_fma_f64 v[134:135], v[82:83], s[22:23], v[138:139]
	v_add_f64 v[74:75], v[146:147], v[74:75]
	v_fma_f64 v[72:73], v[82:83], s[42:43], v[72:73]
	;; [unrolled: 2-line block ×3, first 2 shown]
	v_fma_f64 v[68:69], v[82:83], s[48:49], v[68:69]
	v_add_f64 v[0:1], v[154:155], v[0:1]
	v_add_f64 v[78:79], v[78:79], v[112:113]
	;; [unrolled: 1-line block ×18, first 2 shown]
	v_mul_u32_u24_e32 v68, 0x88, v94
	v_add3_u32 v68, 0, v68, v95
	ds_write2_b64 v68, v[82:83], v[78:79] offset0:2 offset1:3
	ds_write2_b64 v68, v[90:91], v[106:107] offset0:4 offset1:5
	;; [unrolled: 1-line block ×5, first 2 shown]
	ds_write2_b64 v68, v[104:105], v[76:77] offset1:1
	ds_write2_b64 v68, v[84:85], v[86:87] offset0:12 offset1:13
	ds_write2_b64 v68, v[72:73], v[74:75] offset0:14 offset1:15
	ds_write_b64 v68, v[0:1] offset:128
.LBB0_12:
	s_or_b32 exec_lo, exec_lo, s1
	s_waitcnt vmcnt(16)
	v_lshlrev_b32_e32 v0, 3, v94
	s_waitcnt vmcnt(0) lgkmcnt(0)
	s_barrier
	buffer_gl0_inv
	v_add_nc_u32_e32 v104, 0, v0
	v_add3_u32 v101, 0, v95, v0
	v_add_nc_u32_e32 v100, v104, v95
	v_add_nc_u32_e32 v103, 0x400, v100
	;; [unrolled: 1-line block ×3, first 2 shown]
	ds_read2_b64 v[68:71], v100 offset0:34 offset1:68
	ds_read2_b64 v[72:75], v100 offset0:102 offset1:136
	ds_read2_b64 v[76:79], v100 offset0:170 offset1:204
	ds_read2_b64 v[88:91], v103 offset0:110 offset1:144
	ds_read2_b64 v[84:87], v102 offset0:50 offset1:84
	ds_read2_b64 v[80:83], v102 offset0:118 offset1:152
	ds_read_b64 v[0:1], v101
	ds_read_b64 v[98:99], v100 offset:3536
	s_waitcnt lgkmcnt(0)
	s_barrier
	buffer_gl0_inv
	s_and_saveexec_b32 s33, s0
	s_cbranch_execz .LBB0_14
; %bb.13:
	v_add_f64 v[105:106], v[66:67], v[2:3]
	v_add_f64 v[4:5], v[64:65], -v[4:5]
	v_add_f64 v[28:29], v[56:57], -v[28:29]
	;; [unrolled: 1-line block ×3, first 2 shown]
	v_add_f64 v[60:61], v[30:31], v[58:59]
	v_add_f64 v[24:25], v[24:25], -v[32:33]
	v_add_f64 v[32:33], v[38:39], v[18:19]
	s_mov_b32 s28, 0x5d8e7cdc
	s_mov_b32 s46, 0x2a9d6da3
	;; [unrolled: 1-line block ×14, first 2 shown]
	v_add_f64 v[66:67], v[6:7], v[66:67]
	v_add_f64 v[64:65], v[62:63], v[105:106]
	s_mov_b32 s36, 0xacd6c6b4
	v_add_f64 v[44:45], v[48:49], -v[44:45]
	v_mul_f64 v[48:49], v[4:5], s[28:29]
	v_mul_f64 v[105:106], v[4:5], s[34:35]
	;; [unrolled: 1-line block ×3, first 2 shown]
	s_mov_b32 s37, 0xbfc7851a
	v_mul_f64 v[109:110], v[4:5], s[26:27]
	v_mul_f64 v[111:112], v[4:5], s[30:31]
	s_mov_b32 s0, 0x370991
	s_mov_b32 s6, 0x75d4884
	;; [unrolled: 1-line block ×13, first 2 shown]
	v_add_f64 v[56:57], v[58:59], v[64:65]
	v_add_f64 v[58:59], v[34:35], v[26:27]
	v_mul_f64 v[64:65], v[4:5], s[48:49]
	s_mov_b32 s52, s30
	s_mov_b32 s19, 0xbfe348c8
	;; [unrolled: 1-line block ×8, first 2 shown]
	v_add_f64 v[62:63], v[22:23], v[62:63]
	v_add_f64 v[16:17], v[16:17], -v[36:37]
	v_mul_f64 v[113:114], v[20:21], s[46:47]
	v_mul_f64 v[115:116], v[20:21], s[34:35]
	;; [unrolled: 1-line block ×5, first 2 shown]
	v_fma_f64 v[183:184], v[66:67], s[0:1], v[48:49]
	v_fma_f64 v[48:49], v[66:67], s[0:1], -v[48:49]
	v_fma_f64 v[189:190], v[66:67], s[14:15], v[105:106]
	v_fma_f64 v[105:106], v[66:67], s[14:15], -v[105:106]
	v_add_f64 v[26:27], v[26:27], v[56:57]
	v_mul_f64 v[56:57], v[4:5], s[46:47]
	v_mul_f64 v[4:5], v[4:5], s[36:37]
	v_fma_f64 v[187:188], v[66:67], s[8:9], v[64:65]
	v_fma_f64 v[64:65], v[66:67], s[8:9], -v[64:65]
	v_fma_f64 v[191:192], v[66:67], s[16:17], v[107:108]
	s_mov_b32 s25, 0xbfef7484
	s_mov_b32 s41, 0x3fd71e95
	;; [unrolled: 1-line block ×3, first 2 shown]
	v_mul_f64 v[123:124], v[20:21], s[54:55]
	v_mul_f64 v[125:126], v[20:21], s[38:39]
	v_fma_f64 v[193:194], v[66:67], s[18:19], v[109:110]
	v_fma_f64 v[109:110], v[66:67], s[18:19], -v[109:110]
	v_fma_f64 v[195:196], v[66:67], s[20:21], v[111:112]
	v_fma_f64 v[111:112], v[66:67], s[20:21], -v[111:112]
	v_add_f64 v[40:41], v[52:53], -v[40:41]
	v_add_f64 v[52:53], v[46:47], v[50:51]
	v_mul_f64 v[20:21], v[20:21], s[40:41]
	v_fma_f64 v[107:108], v[66:67], s[16:17], -v[107:108]
	s_mov_b32 s57, 0x3fc7851a
	s_mov_b32 s43, 0x3fe58eea
	s_mov_b32 s56, s36
	v_add_f64 v[18:19], v[18:19], v[26:27]
	v_fma_f64 v[185:186], v[66:67], s[6:7], v[56:57]
	v_fma_f64 v[56:57], v[66:67], s[6:7], -v[56:57]
	s_mov_b32 s42, s46
	v_mul_f64 v[127:128], v[28:29], s[48:49]
	v_mul_f64 v[129:130], v[28:29], s[26:27]
	;; [unrolled: 1-line block ×6, first 2 shown]
	v_fma_f64 v[197:198], v[62:63], s[14:15], v[115:116]
	v_fma_f64 v[115:116], v[62:63], s[14:15], -v[115:116]
	v_fma_f64 v[199:200], v[62:63], s[18:19], v[117:118]
	v_fma_f64 v[117:118], v[62:63], s[18:19], -v[117:118]
	;; [unrolled: 2-line block ×3, first 2 shown]
	v_fma_f64 v[203:204], v[62:63], s[20:21], v[121:122]
	v_add_f64 v[183:184], v[2:3], v[183:184]
	v_add_f64 v[48:49], v[2:3], v[48:49]
	;; [unrolled: 1-line block ×9, first 2 shown]
	v_mul_f64 v[26:27], v[28:29], s[34:35]
	v_fma_f64 v[205:206], v[62:63], s[16:17], v[123:124]
	v_fma_f64 v[123:124], v[62:63], s[16:17], -v[123:124]
	v_fma_f64 v[207:208], v[62:63], s[8:9], v[125:126]
	v_add_f64 v[109:110], v[2:3], v[109:110]
	v_add_f64 v[195:196], v[2:3], v[195:196]
	v_fma_f64 v[125:126], v[62:63], s[8:9], -v[125:126]
	v_add_f64 v[111:112], v[2:3], v[111:112]
	v_mul_f64 v[137:138], v[28:29], s[28:29]
	v_mul_f64 v[28:29], v[28:29], s[30:31]
	v_fma_f64 v[209:210], v[62:63], s[0:1], v[20:21]
	v_fma_f64 v[20:21], v[62:63], s[0:1], -v[20:21]
	v_add_f64 v[189:190], v[2:3], v[189:190]
	v_add_f64 v[107:108], v[2:3], v[107:108]
	;; [unrolled: 1-line block ×3, first 2 shown]
	s_mov_b32 s51, 0x3fe9895b
	s_mov_b32 s50, s26
	;; [unrolled: 1-line block ×3, first 2 shown]
	v_add_f64 v[18:19], v[50:51], v[18:19]
	v_fma_f64 v[50:51], v[66:67], s[24:25], v[4:5]
	v_fma_f64 v[4:5], v[66:67], s[24:25], -v[4:5]
	v_fma_f64 v[66:67], v[62:63], s[6:7], v[113:114]
	v_fma_f64 v[113:114], v[62:63], s[6:7], -v[113:114]
	v_add_f64 v[36:37], v[42:43], v[54:55]
	s_mov_b32 s44, s34
	v_mul_f64 v[139:140], v[24:25], s[34:35]
	v_mul_f64 v[141:142], v[24:25], s[36:37]
	;; [unrolled: 1-line block ×5, first 2 shown]
	v_fma_f64 v[121:122], v[62:63], s[20:21], -v[121:122]
	v_fma_f64 v[62:63], v[60:61], s[8:9], v[127:128]
	v_fma_f64 v[127:128], v[60:61], s[8:9], -v[127:128]
	v_fma_f64 v[211:212], v[60:61], s[18:19], v[129:130]
	;; [unrolled: 2-line block ×5, first 2 shown]
	v_add_f64 v[18:19], v[14:15], v[18:19]
	v_add_f64 v[50:51], v[2:3], v[50:51]
	;; [unrolled: 1-line block ×3, first 2 shown]
	v_fma_f64 v[247:248], v[32:33], s[0:1], v[165:166]
	v_add_f64 v[4:5], v[66:67], v[183:184]
	v_add_f64 v[48:49], v[113:114], v[48:49]
	;; [unrolled: 1-line block ×7, first 2 shown]
	v_mul_f64 v[151:152], v[24:25], s[50:51]
	v_fma_f64 v[221:222], v[60:61], s[14:15], v[26:27]
	v_add_f64 v[109:110], v[123:124], v[109:110]
	v_add_f64 v[123:124], v[207:208], v[195:196]
	v_mul_f64 v[149:150], v[24:25], s[30:31]
	v_mul_f64 v[24:25], v[24:25], s[42:43]
	;; [unrolled: 1-line block ×7, first 2 shown]
	v_add_f64 v[18:19], v[10:11], v[18:19]
	v_mul_f64 v[163:164], v[16:17], s[44:45]
	v_mul_f64 v[16:17], v[16:17], s[26:27]
	v_fma_f64 v[26:27], v[60:61], s[14:15], -v[26:27]
	v_add_f64 v[111:112], v[125:126], v[111:112]
	v_fma_f64 v[223:224], v[60:61], s[20:21], v[28:29]
	v_fma_f64 v[28:29], v[60:61], s[20:21], -v[28:29]
	v_add_f64 v[2:3], v[20:21], v[2:3]
	v_fma_f64 v[135:136], v[60:61], s[6:7], -v[135:136]
	v_fma_f64 v[219:220], v[60:61], s[0:1], v[137:138]
	v_fma_f64 v[137:138], v[60:61], s[0:1], -v[137:138]
	v_fma_f64 v[60:61], v[58:59], s[14:15], v[139:140]
	;; [unrolled: 2-line block ×6, first 2 shown]
	v_add_f64 v[50:51], v[209:210], v[50:51]
	v_add_f64 v[4:5], v[62:63], v[4:5]
	;; [unrolled: 1-line block ×9, first 2 shown]
	v_fma_f64 v[235:236], v[58:59], s[18:19], v[151:152]
	v_add_f64 v[107:108], v[121:122], v[107:108]
	v_add_f64 v[123:124], v[221:222], v[123:124]
	v_fma_f64 v[147:148], v[58:59], s[8:9], -v[147:148]
	v_fma_f64 v[233:234], v[58:59], s[20:21], v[149:150]
	v_fma_f64 v[149:150], v[58:59], s[20:21], -v[149:150]
	v_fma_f64 v[151:152], v[58:59], s[18:19], -v[151:152]
	v_fma_f64 v[237:238], v[58:59], s[6:7], v[24:25]
	v_fma_f64 v[24:25], v[58:59], s[6:7], -v[24:25]
	v_fma_f64 v[58:59], v[32:33], s[16:17], v[153:154]
	;; [unrolled: 2-line block ×4, first 2 shown]
	v_fma_f64 v[157:158], v[32:33], s[6:7], -v[157:158]
	v_add_f64 v[18:19], v[42:43], v[18:19]
	v_fma_f64 v[42:43], v[32:33], s[0:1], -v[165:166]
	v_add_f64 v[165:166], v[203:204], v[191:192]
	v_fma_f64 v[243:244], v[32:33], s[8:9], v[159:160]
	v_fma_f64 v[159:160], v[32:33], s[8:9], -v[159:160]
	v_fma_f64 v[46:47], v[32:33], s[24:25], v[161:162]
	v_fma_f64 v[161:162], v[32:33], s[24:25], -v[161:162]
	;; [unrolled: 2-line block ×4, first 2 shown]
	v_add_f64 v[32:33], v[201:202], v[189:190]
	v_add_f64 v[26:27], v[26:27], v[111:112]
	;; [unrolled: 1-line block ×4, first 2 shown]
	v_mul_f64 v[167:168], v[40:41], s[26:27]
	v_mul_f64 v[169:170], v[40:41], s[54:55]
	;; [unrolled: 1-line block ×7, first 2 shown]
	v_add_f64 v[18:19], v[38:39], v[18:19]
	v_mul_f64 v[40:41], v[40:41], s[38:39]
	v_add_f64 v[129:130], v[217:218], v[165:166]
	v_add_f64 v[109:110], v[137:138], v[109:110]
	v_add_f64 v[50:51], v[223:224], v[50:51]
	v_add_f64 v[4:5], v[60:61], v[4:5]
	v_add_f64 v[20:21], v[139:140], v[20:21]
	v_add_f64 v[28:29], v[225:226], v[48:49]
	v_add_f64 v[48:49], v[141:142], v[56:57]
	v_add_f64 v[56:57], v[227:228], v[62:63]
	v_add_f64 v[60:61], v[143:144], v[64:65]
	v_add_f64 v[105:106], v[145:146], v[105:106]
	v_add_f64 v[107:108], v[135:136], v[107:108]
	v_add_f64 v[123:124], v[235:236], v[123:124]
	v_add_f64 v[32:33], v[215:216], v[32:33]
	v_add_f64 v[26:27], v[151:152], v[26:27]
	v_add_f64 v[121:122], v[219:220], v[121:122]
	v_add_f64 v[2:3], v[24:25], v[2:3]
	v_fma_f64 v[117:118], v[36:37], s[18:19], v[167:168]
	v_fma_f64 v[119:120], v[36:37], s[18:19], -v[167:168]
	v_fma_f64 v[38:39], v[36:37], s[16:17], v[169:170]
	v_fma_f64 v[66:67], v[36:37], s[16:17], -v[169:170]
	v_add_f64 v[18:19], v[34:35], v[18:19]
	v_fma_f64 v[113:114], v[36:37], s[0:1], v[171:172]
	v_add_f64 v[129:130], v[231:232], v[129:130]
	v_fma_f64 v[125:126], v[36:37], s[0:1], -v[171:172]
	v_fma_f64 v[127:128], v[36:37], s[20:21], v[54:55]
	v_fma_f64 v[34:35], v[36:37], s[20:21], -v[54:55]
	v_fma_f64 v[54:55], v[36:37], s[14:15], v[173:174]
	;; [unrolled: 2-line block ×3, first 2 shown]
	v_fma_f64 v[111:112], v[36:37], s[6:7], -v[175:176]
	v_add_f64 v[109:110], v[149:150], v[109:110]
	v_add_f64 v[50:51], v[237:238], v[50:51]
	;; [unrolled: 1-line block ×7, first 2 shown]
	v_fma_f64 v[56:57], v[36:37], s[24:25], -v[177:178]
	v_add_f64 v[58:59], v[157:158], v[60:61]
	v_fma_f64 v[60:61], v[36:37], s[8:9], v[40:41]
	v_mul_f64 v[179:180], v[44:45], s[30:31]
	v_mul_f64 v[181:182], v[44:45], s[38:39]
	v_add_f64 v[18:19], v[30:31], v[18:19]
	v_fma_f64 v[30:31], v[36:37], s[24:25], v[177:178]
	v_fma_f64 v[36:37], v[36:37], s[8:9], -v[40:41]
	v_add_f64 v[40:41], v[159:160], v[105:106]
	v_add_f64 v[46:47], v[46:47], v[129:130]
	;; [unrolled: 1-line block ×14, first 2 shown]
	v_mul_f64 v[50:51], v[44:45], s[50:51]
	v_add_f64 v[48:49], v[125:126], v[58:59]
	v_mul_f64 v[58:59], v[44:45], s[28:29]
	v_add_f64 v[8:9], v[12:13], -v[8:9]
	v_fma_f64 v[105:106], v[52:53], s[20:21], v[179:180]
	v_add_f64 v[18:19], v[22:23], v[18:19]
	v_mul_f64 v[22:23], v[44:45], s[34:35]
	v_add_f64 v[4:5], v[117:118], v[4:5]
	v_add_f64 v[34:35], v[34:35], v[40:41]
	v_mul_f64 v[40:41], v[44:45], s[36:37]
	v_add_f64 v[46:47], v[54:55], v[46:47]
	v_mul_f64 v[54:55], v[44:45], s[42:43]
	v_mul_f64 v[44:45], v[44:45], s[22:23]
	v_add_f64 v[107:108], v[161:162], v[107:108]
	v_fma_f64 v[38:39], v[52:53], s[20:21], -v[179:180]
	v_add_f64 v[12:13], v[30:31], v[123:124]
	v_fma_f64 v[30:31], v[52:53], s[8:9], v[181:182]
	v_add_f64 v[32:33], v[243:244], v[32:33]
	v_add_f64 v[26:27], v[56:57], v[26:27]
	v_fma_f64 v[56:57], v[52:53], s[8:9], -v[181:182]
	v_add_f64 v[121:122], v[245:246], v[121:122]
	v_add_f64 v[2:3], v[36:37], v[2:3]
	v_add_f64 v[66:67], v[111:112], v[109:110]
	v_add_f64 v[10:11], v[10:11], v[14:15]
	v_add_f64 v[42:43], v[60:61], v[42:43]
	v_mul_f64 v[14:15], v[8:9], s[36:37]
	v_fma_f64 v[60:61], v[52:53], s[0:1], v[58:59]
	v_fma_f64 v[58:59], v[52:53], s[0:1], -v[58:59]
	v_fma_f64 v[36:37], v[52:53], s[14:15], v[22:23]
	v_add_f64 v[4:5], v[105:106], v[4:5]
	v_fma_f64 v[22:23], v[52:53], s[14:15], -v[22:23]
	v_fma_f64 v[105:106], v[52:53], s[24:25], v[40:41]
	v_fma_f64 v[40:41], v[52:53], s[24:25], -v[40:41]
	v_mul_f64 v[111:112], v[8:9], s[42:43]
	v_fma_f64 v[109:110], v[52:53], s[16:17], v[44:45]
	v_fma_f64 v[44:45], v[52:53], s[16:17], -v[44:45]
	v_add_f64 v[62:63], v[62:63], v[107:108]
	v_add_f64 v[16:17], v[38:39], v[16:17]
	v_fma_f64 v[38:39], v[52:53], s[18:19], v[50:51]
	v_fma_f64 v[50:51], v[52:53], s[18:19], -v[50:51]
	v_fma_f64 v[107:108], v[52:53], s[6:7], v[54:55]
	v_fma_f64 v[54:55], v[52:53], s[6:7], -v[54:55]
	v_mul_f64 v[52:53], v[8:9], s[40:41]
	v_add_f64 v[20:21], v[30:31], v[20:21]
	v_mul_f64 v[30:31], v[8:9], s[30:31]
	v_add_f64 v[32:33], v[127:128], v[32:33]
	v_add_f64 v[24:25], v[56:57], v[24:25]
	v_mul_f64 v[56:57], v[8:9], s[26:27]
	v_add_f64 v[64:65], v[64:65], v[121:122]
	v_mul_f64 v[113:114], v[8:9], s[38:39]
	;; [unrolled: 2-line block ×3, first 2 shown]
	v_mul_f64 v[8:9], v[8:9], s[44:45]
	v_add_f64 v[22:23], v[22:23], v[48:49]
	v_add_f64 v[40:41], v[40:41], v[66:67]
	;; [unrolled: 1-line block ×5, first 2 shown]
	v_fma_f64 v[44:45], v[10:11], s[24:25], v[14:15]
	v_add_f64 v[34:35], v[50:51], v[34:35]
	v_add_f64 v[12:13], v[107:108], v[12:13]
	;; [unrolled: 1-line block ×3, first 2 shown]
	v_fma_f64 v[50:51], v[10:11], s[0:1], v[52:53]
	v_fma_f64 v[52:53], v[10:11], s[0:1], -v[52:53]
	v_fma_f64 v[54:55], v[10:11], s[20:21], v[30:31]
	v_add_f64 v[32:33], v[38:39], v[32:33]
	v_add_f64 v[38:39], v[60:61], v[46:47]
	;; [unrolled: 1-line block ×3, first 2 shown]
	v_fma_f64 v[58:59], v[10:11], s[6:7], v[111:112]
	v_fma_f64 v[62:63], v[10:11], s[18:19], v[56:57]
	v_add_f64 v[48:49], v[105:106], v[64:65]
	v_fma_f64 v[60:61], v[10:11], s[6:7], -v[111:112]
	v_fma_f64 v[64:65], v[10:11], s[8:9], v[113:114]
	v_fma_f64 v[105:106], v[10:11], s[16:17], v[36:37]
	v_fma_f64 v[66:67], v[10:11], s[8:9], -v[113:114]
	v_fma_f64 v[107:108], v[10:11], s[14:15], v[8:9]
	v_fma_f64 v[8:9], v[10:11], s[14:15], -v[8:9]
	v_fma_f64 v[36:37], v[10:11], s[16:17], -v[36:37]
	;; [unrolled: 1-line block ×5, first 2 shown]
	v_add_f64 v[4:5], v[44:45], v[4:5]
	v_add_f64 v[14:15], v[50:51], v[20:21]
	v_add_f64 v[18:19], v[52:53], v[24:25]
	v_add_f64 v[20:21], v[54:55], v[28:29]
	v_add_f64 v[24:25], v[58:59], v[32:33]
	v_add_f64 v[32:33], v[62:63], v[38:39]
	v_add_f64 v[28:29], v[60:61], v[34:35]
	v_add_f64 v[34:35], v[64:65], v[48:49]
	v_add_f64 v[12:13], v[105:106], v[12:13]
	v_add_f64 v[38:39], v[66:67], v[40:41]
	v_add_f64 v[40:41], v[107:108], v[42:43]
	v_add_f64 v[2:3], v[8:9], v[2:3]
	v_add_f64 v[8:9], v[36:37], v[26:27]
	v_add_f64 v[26:27], v[56:57], v[46:47]
	v_add_f64 v[22:23], v[30:31], v[22:23]
	v_add_f64 v[10:11], v[10:11], v[16:17]
	v_lshlrev_b32_e32 v16, 7, v94
	v_add3_u32 v16, v104, v16, v95
	ds_write2_b64 v16, v[6:7], v[4:5] offset1:1
	ds_write2_b64 v16, v[14:15], v[20:21] offset0:2 offset1:3
	ds_write2_b64 v16, v[24:25], v[32:33] offset0:4 offset1:5
	;; [unrolled: 1-line block ×7, first 2 shown]
	ds_write_b64 v16, v[10:11] offset:128
.LBB0_14:
	s_or_b32 exec_lo, exec_lo, s33
	v_add_nc_u32_e32 v37, 34, v94
	v_add_nc_u32_e32 v25, 0x44, v94
	;; [unrolled: 1-line block ×5, first 2 shown]
	v_and_b32_e32 v2, 0xff, v37
	v_add_nc_u32_e32 v26, 0xcc, v94
	v_and_b32_e32 v4, 0xff, v25
	v_and_b32_e32 v5, 0xff, v24
	v_subrev_nc_u32_e32 v3, 17, v94
	v_mul_lo_u16 v2, 0xf1, v2
	v_cmp_gt_u32_e64 s0, 17, v94
	v_and_b32_e32 v7, 0xff, v30
	v_and_b32_e32 v11, 0xff, v28
	;; [unrolled: 1-line block ×3, first 2 shown]
	v_mul_lo_u16 v13, 0xf1, v4
	v_lshrrev_b16 v27, 12, v2
	v_mul_lo_u16 v14, 0xf1, v5
	v_mov_b32_e32 v32, 0
	v_cndmask_b32_e64 v31, v3, v94, s0
	v_mul_lo_u16 v15, 0xf1, v7
	v_mul_lo_u16 v11, 0xf1, v11
	;; [unrolled: 1-line block ×3, first 2 shown]
	v_lshrrev_b16 v118, 12, v13
	v_mul_lo_u16 v6, v27, 17
	v_lshrrev_b16 v119, 12, v14
	v_lshlrev_b64 v[2:3], 4, v[31:32]
	v_lshrrev_b16 v120, 12, v15
	v_lshrrev_b16 v121, 12, v11
	v_lshrrev_b16 v122, 12, v12
	v_mul_lo_u16 v11, v118, 17
	v_mov_b32_e32 v10, 4
	v_sub_nc_u16 v29, v37, v6
	v_mul_lo_u16 v12, v119, 17
	v_mul_lo_u16 v13, v120, 17
	v_add_co_u32 v2, s0, s12, v2
	v_mul_lo_u16 v14, v121, 17
	v_mul_lo_u16 v15, v122, 17
	v_add_co_ci_u32_e64 v3, s0, s13, v3, s0
	v_sub_nc_u16 v123, v25, v11
	v_lshlrev_b32_sdwa v6, v10, v29 dst_sel:DWORD dst_unused:UNUSED_PAD src0_sel:DWORD src1_sel:BYTE_0
	v_sub_nc_u16 v124, v24, v12
	v_sub_nc_u16 v125, v30, v13
	;; [unrolled: 1-line block ×4, first 2 shown]
	s_load_dwordx2 s[4:5], s[4:5], 0x0
	s_waitcnt lgkmcnt(0)
	s_barrier
	buffer_gl0_inv
	s_clause 0x1
	global_load_dwordx4 v[2:5], v[2:3], off
	global_load_dwordx4 v[6:9], v6, s[12:13]
	v_lshlrev_b32_sdwa v11, v10, v123 dst_sel:DWORD dst_unused:UNUSED_PAD src0_sel:DWORD src1_sel:BYTE_0
	v_lshlrev_b32_sdwa v14, v10, v124 dst_sel:DWORD dst_unused:UNUSED_PAD src0_sel:DWORD src1_sel:BYTE_0
	;; [unrolled: 1-line block ×5, first 2 shown]
	s_clause 0x4
	global_load_dwordx4 v[10:13], v11, s[12:13]
	global_load_dwordx4 v[14:17], v14, s[12:13]
	;; [unrolled: 1-line block ×5, first 2 shown]
	ds_read2_b64 v[42:45], v103 offset0:110 offset1:144
	ds_read2_b64 v[46:49], v102 offset0:50 offset1:84
	;; [unrolled: 1-line block ×3, first 2 shown]
	ds_read_b64 v[22:23], v100 offset:3536
	v_cmp_lt_u32_e64 s0, 16, v94
	ds_read_b64 v[66:67], v101
	ds_read2_b64 v[54:57], v100 offset0:34 offset1:68
	v_mov_b32_e32 v130, 3
	v_and_b32_e32 v27, 0xffff, v27
	v_and_b32_e32 v118, 0xffff, v118
	v_cndmask_b32_e64 v58, 0, 0x110, s0
	v_and_b32_e32 v119, 0xffff, v119
	v_mul_u32_u24_e32 v128, 6, v94
	v_lshlrev_b32_e32 v31, 3, v31
	v_mad_u32_u24 v27, 0x110, v27, 0
	v_add_nc_u32_e32 v129, 0, v58
	ds_read2_b64 v[58:61], v100 offset0:102 offset1:136
	ds_read2_b64 v[62:65], v100 offset0:170 offset1:204
	v_lshlrev_b32_sdwa v29, v130, v29 dst_sel:DWORD dst_unused:UNUSED_PAD src0_sel:DWORD src1_sel:BYTE_0
	v_lshlrev_b32_e32 v128, 4, v128
	s_waitcnt vmcnt(0) lgkmcnt(0)
	v_add3_u32 v31, v129, v31, v95
	s_barrier
	v_add3_u32 v27, v27, v29, v95
	buffer_gl0_inv
	s_mov_b32 s14, 0x37e14327
	s_mov_b32 s0, 0x36b3c0b5
	s_mov_b32 s22, 0xe976ee23
	s_mov_b32 s15, 0x3fe948f6
	s_mov_b32 s1, 0x3fac98ee
	s_mov_b32 s23, 0xbfe11646
	s_mov_b32 s6, 0x429ad128
	s_mov_b32 s7, 0x3febfeb5
	s_mov_b32 s8, 0xaaaaaaaa
	s_mov_b32 s18, 0x5476071b
	s_mov_b32 s24, 0xb247c609
	s_mov_b32 s9, 0xbff2aaaa
	s_mov_b32 s19, 0x3fe77f67
	s_mov_b32 s21, 0xbfe77f67
	s_mov_b32 s25, 0x3fd5d0dc
	s_mov_b32 s20, s18
	s_mov_b32 s27, 0xbfd5d0dc
	s_mov_b32 s26, s24
	s_mov_b32 s16, 0x37c3f68c
	s_mov_b32 s17, 0x3fdc38aa
	v_mul_f64 v[104:105], v[42:43], v[4:5]
	v_mul_f64 v[4:5], v[88:89], v[4:5]
	;; [unrolled: 1-line block ×14, first 2 shown]
	v_fma_f64 v[88:89], v[88:89], v[2:3], -v[104:105]
	v_fma_f64 v[2:3], v[42:43], v[2:3], v[4:5]
	v_fma_f64 v[90:91], v[90:91], v[6:7], -v[106:107]
	v_fma_f64 v[4:5], v[44:45], v[6:7], v[8:9]
	;; [unrolled: 2-line block ×7, first 2 shown]
	v_and_b32_e32 v104, 0xffff, v120
	v_and_b32_e32 v105, 0xffff, v121
	;; [unrolled: 1-line block ×3, first 2 shown]
	v_mad_u32_u24 v107, 0x110, v118, 0
	v_mad_u32_u24 v108, 0x110, v119, 0
	;; [unrolled: 1-line block ×4, first 2 shown]
	v_add_f64 v[16:17], v[0:1], -v[88:89]
	v_add_f64 v[40:41], v[66:67], -v[2:3]
	;; [unrolled: 1-line block ×14, first 2 shown]
	v_lshlrev_b32_sdwa v81, v130, v123 dst_sel:DWORD dst_unused:UNUSED_PAD src0_sel:DWORD src1_sel:BYTE_0
	v_lshlrev_b32_sdwa v82, v130, v124 dst_sel:DWORD dst_unused:UNUSED_PAD src0_sel:DWORD src1_sel:BYTE_0
	;; [unrolled: 1-line block ×3, first 2 shown]
	v_mad_u32_u24 v80, 0x110, v106, 0
	v_lshlrev_b32_sdwa v84, v130, v126 dst_sel:DWORD dst_unused:UNUSED_PAD src0_sel:DWORD src1_sel:BYTE_0
	v_lshlrev_b32_sdwa v85, v130, v127 dst_sel:DWORD dst_unused:UNUSED_PAD src0_sel:DWORD src1_sel:BYTE_0
	v_add3_u32 v29, v107, v81, v95
	v_fma_f64 v[0:1], v[0:1], 2.0, -v[16:17]
	v_fma_f64 v[66:67], v[66:67], 2.0, -v[40:41]
	;; [unrolled: 1-line block ×14, first 2 shown]
	v_add3_u32 v68, v108, v82, v95
	v_add3_u32 v69, v104, v83, v95
	;; [unrolled: 1-line block ×4, first 2 shown]
	ds_write2_b64 v31, v[0:1], v[16:17] offset1:17
	ds_write2_b64 v27, v[2:3], v[18:19] offset1:17
	;; [unrolled: 1-line block ×7, first 2 shown]
	s_waitcnt lgkmcnt(0)
	s_barrier
	buffer_gl0_inv
	ds_read2_b64 v[0:3], v100 offset0:34 offset1:68
	ds_read2_b64 v[4:7], v100 offset0:102 offset1:136
	;; [unrolled: 1-line block ×6, first 2 shown]
	ds_read_b64 v[82:83], v101
	ds_read_b64 v[84:85], v100 offset:3536
	s_waitcnt lgkmcnt(0)
	s_barrier
	buffer_gl0_inv
	ds_write2_b64 v31, v[66:67], v[40:41] offset1:17
	ds_write2_b64 v27, v[54:55], v[42:43] offset1:17
	;; [unrolled: 1-line block ×7, first 2 shown]
	s_waitcnt lgkmcnt(0)
	s_barrier
	buffer_gl0_inv
	s_clause 0x5
	global_load_dwordx4 v[33:36], v128, s[12:13] offset:272
	global_load_dwordx4 v[38:41], v128, s[12:13] offset:288
	global_load_dwordx4 v[42:45], v128, s[12:13] offset:304
	global_load_dwordx4 v[46:49], v128, s[12:13] offset:352
	global_load_dwordx4 v[50:53], v128, s[12:13] offset:336
	global_load_dwordx4 v[54:57], v128, s[12:13] offset:320
	ds_read2_b64 v[58:61], v100 offset0:34 offset1:68
	ds_read2_b64 v[62:65], v100 offset0:102 offset1:136
	;; [unrolled: 1-line block ×6, first 2 shown]
	ds_read_b64 v[86:87], v101
	ds_read_b64 v[88:89], v100 offset:3536
	s_waitcnt vmcnt(0) lgkmcnt(0)
	s_barrier
	buffer_gl0_inv
	v_mul_f64 v[90:91], v[60:61], v[35:36]
	v_mul_f64 v[104:105], v[64:65], v[40:41]
	;; [unrolled: 1-line block ×24, first 2 shown]
	v_fma_f64 v[2:3], v[2:3], v[33:34], -v[90:91]
	v_fma_f64 v[6:7], v[6:7], v[38:39], -v[104:105]
	;; [unrolled: 1-line block ×10, first 2 shown]
	v_fma_f64 v[60:61], v[60:61], v[33:34], v[98:99]
	v_fma_f64 v[64:65], v[64:65], v[38:39], v[106:107]
	;; [unrolled: 1-line block ×9, first 2 shown]
	v_fma_f64 v[12:13], v[12:13], v[42:43], -v[132:133]
	v_fma_f64 v[42:43], v[78:79], v[42:43], v[44:45]
	v_fma_f64 v[40:41], v[70:71], v[50:51], v[52:53]
	v_fma_f64 v[16:17], v[16:17], v[54:55], -v[134:135]
	v_fma_f64 v[44:45], v[74:75], v[54:55], v[56:57]
	v_add_f64 v[46:47], v[2:3], v[22:23]
	v_add_f64 v[50:51], v[6:7], v[18:19]
	v_add_f64 v[6:7], v[6:7], -v[18:19]
	v_add_f64 v[18:19], v[10:11], v[14:15]
	v_add_f64 v[10:11], v[14:15], -v[10:11]
	v_add_f64 v[2:3], v[2:3], -v[22:23]
	v_add_f64 v[14:15], v[4:5], v[84:85]
	v_add_f64 v[56:57], v[8:9], v[20:21]
	v_add_f64 v[8:9], v[8:9], -v[20:21]
	v_add_f64 v[4:5], v[4:5], -v[84:85]
	v_add_f64 v[48:49], v[60:61], v[72:73]
	v_add_f64 v[52:53], v[64:65], v[76:77]
	v_add_f64 v[54:55], v[64:65], -v[76:77]
	v_add_f64 v[62:63], v[80:81], -v[68:69]
	;; [unrolled: 1-line block ×3, first 2 shown]
	v_add_f64 v[22:23], v[68:69], v[80:81]
	v_add_f64 v[64:65], v[33:34], v[35:36]
	v_add_f64 v[33:34], v[33:34], -v[35:36]
	v_add_f64 v[35:36], v[38:39], v[40:41]
	v_add_f64 v[20:21], v[38:39], -v[40:41]
	v_add_f64 v[38:39], v[12:13], v[16:17]
	v_add_f64 v[40:41], v[42:43], v[44:45]
	v_add_f64 v[12:13], v[16:17], -v[12:13]
	v_add_f64 v[16:17], v[44:45], -v[42:43]
	v_add_f64 v[42:43], v[50:51], v[46:47]
	v_add_f64 v[66:67], v[50:51], -v[46:47]
	v_add_f64 v[46:47], v[46:47], -v[18:19]
	;; [unrolled: 1-line block ×3, first 2 shown]
	v_add_f64 v[72:73], v[56:57], v[14:15]
	v_add_f64 v[84:85], v[56:57], -v[14:15]
	v_add_f64 v[70:71], v[10:11], v[6:7]
	v_add_f64 v[76:77], v[10:11], -v[6:7]
	;; [unrolled: 2-line block ×4, first 2 shown]
	v_add_f64 v[54:55], v[54:55], -v[60:61]
	v_add_f64 v[48:49], v[48:49], -v[22:23]
	v_add_f64 v[52:53], v[22:23], -v[52:53]
	v_add_f64 v[62:63], v[60:61], -v[62:63]
	v_add_f64 v[80:81], v[35:36], v[64:65]
	v_add_f64 v[6:7], v[6:7], -v[2:3]
	v_add_f64 v[14:15], v[14:15], -v[38:39]
	;; [unrolled: 1-line block ×3, first 2 shown]
	v_add_f64 v[90:91], v[12:13], v[8:9]
	v_add_f64 v[104:105], v[16:17], -v[20:21]
	v_add_f64 v[18:19], v[18:19], v[42:43]
	v_add_f64 v[42:43], v[16:17], v[20:21]
	v_add_f64 v[20:21], v[20:21], -v[33:34]
	v_add_f64 v[88:89], v[35:36], -v[64:65]
	v_add_f64 v[38:39], v[38:39], v[72:73]
	v_add_f64 v[64:65], v[64:65], -v[40:41]
	v_add_f64 v[35:36], v[40:41], -v[35:36]
	;; [unrolled: 1-line block ×4, first 2 shown]
	v_add_f64 v[22:23], v[22:23], v[44:45]
	v_add_f64 v[44:45], v[74:75], v[60:61]
	v_mul_f64 v[46:47], v[46:47], s[14:15]
	v_mul_f64 v[60:61], v[50:51], s[0:1]
	;; [unrolled: 1-line block ×4, first 2 shown]
	v_add_f64 v[16:17], v[33:34], -v[16:17]
	v_add_f64 v[40:41], v[40:41], v[80:81]
	v_add_f64 v[12:13], v[4:5], -v[12:13]
	v_mul_f64 v[14:15], v[14:15], s[14:15]
	v_add_f64 v[10:11], v[2:3], -v[10:11]
	v_add_f64 v[4:5], v[90:91], v[4:5]
	v_mul_f64 v[90:91], v[56:57], s[0:1]
	v_add_f64 v[80:81], v[82:83], v[18:19]
	v_add_f64 v[33:34], v[42:43], v[33:34]
	v_mul_f64 v[42:43], v[104:105], s[22:23]
	v_mul_f64 v[82:83], v[20:21], s[6:7]
	v_add_f64 v[0:1], v[0:1], v[38:39]
	v_add_f64 v[2:3], v[70:71], v[2:3]
	v_mul_f64 v[48:49], v[48:49], s[14:15]
	v_mul_f64 v[70:71], v[52:53], s[0:1]
	v_mul_f64 v[72:73], v[76:77], s[22:23]
	v_mul_f64 v[76:77], v[6:7], s[6:7]
	v_mul_f64 v[64:65], v[64:65], s[14:15]
	v_mul_f64 v[104:105], v[35:36], s[0:1]
	v_mul_f64 v[98:99], v[98:99], s[22:23]
	v_mul_f64 v[106:107], v[8:9], s[6:7]
	v_add_f64 v[86:87], v[86:87], v[22:23]
	v_fma_f64 v[50:51], v[50:51], s[0:1], v[46:47]
	v_fma_f64 v[60:61], v[66:67], s[18:19], -v[60:61]
	v_fma_f64 v[46:47], v[66:67], s[20:21], -v[46:47]
	v_fma_f64 v[66:67], v[62:63], s[24:25], v[74:75]
	v_add_f64 v[58:59], v[58:59], v[40:41]
	v_fma_f64 v[54:55], v[54:55], s[6:7], -v[74:75]
	v_fma_f64 v[62:63], v[62:63], s[26:27], -v[78:79]
	v_fma_f64 v[18:19], v[18:19], s[8:9], v[80:81]
	v_fma_f64 v[56:57], v[56:57], s[0:1], v[14:15]
	;; [unrolled: 1-line block ×3, first 2 shown]
	v_fma_f64 v[20:21], v[20:21], s[6:7], -v[42:43]
	v_fma_f64 v[16:17], v[16:17], s[26:27], -v[82:83]
	v_fma_f64 v[38:39], v[38:39], s[8:9], v[0:1]
	v_fma_f64 v[14:15], v[84:85], s[20:21], -v[14:15]
	v_fma_f64 v[42:43], v[84:85], s[18:19], -v[90:91]
	v_fma_f64 v[52:53], v[52:53], s[0:1], v[48:49]
	;; [unrolled: 3-line block ×4, first 2 shown]
	v_fma_f64 v[72:73], v[88:89], s[18:19], -v[104:105]
	v_fma_f64 v[76:77], v[12:13], s[24:25], v[98:99]
	v_fma_f64 v[8:9], v[8:9], s[6:7], -v[98:99]
	v_fma_f64 v[22:23], v[22:23], s[8:9], v[86:87]
	v_fma_f64 v[64:65], v[88:89], s[20:21], -v[64:65]
	v_fma_f64 v[12:13], v[12:13], s[26:27], -v[106:107]
	v_fma_f64 v[66:67], v[44:45], s[16:17], v[66:67]
	v_fma_f64 v[40:41], v[40:41], s[8:9], v[58:59]
	v_add_f64 v[50:51], v[50:51], v[18:19]
	v_fma_f64 v[54:55], v[44:45], s[16:17], v[54:55]
	v_fma_f64 v[44:45], v[44:45], s[16:17], v[62:63]
	v_add_f64 v[46:47], v[46:47], v[18:19]
	v_add_f64 v[18:19], v[60:61], v[18:19]
	v_fma_f64 v[60:61], v[33:34], s[16:17], v[74:75]
	v_fma_f64 v[20:21], v[33:34], s[16:17], v[20:21]
	;; [unrolled: 1-line block ×3, first 2 shown]
	v_add_f64 v[33:34], v[56:57], v[38:39]
	v_add_f64 v[14:15], v[14:15], v[38:39]
	;; [unrolled: 1-line block ×3, first 2 shown]
	v_fma_f64 v[42:43], v[2:3], s[16:17], v[68:69]
	v_fma_f64 v[6:7], v[2:3], s[16:17], v[6:7]
	;; [unrolled: 1-line block ×5, first 2 shown]
	v_add_f64 v[52:53], v[52:53], v[22:23]
	v_add_f64 v[48:49], v[48:49], v[22:23]
	;; [unrolled: 1-line block ×3, first 2 shown]
	v_fma_f64 v[4:5], v[4:5], s[16:17], v[12:13]
	v_add_f64 v[12:13], v[35:36], v[40:41]
	v_add_f64 v[35:36], v[72:73], v[40:41]
	;; [unrolled: 1-line block ×5, first 2 shown]
	v_add_f64 v[64:65], v[18:19], -v[54:55]
	v_add_f64 v[18:19], v[54:55], v[18:19]
	v_add_f64 v[44:45], v[46:47], -v[44:45]
	v_add_f64 v[46:47], v[50:51], -v[66:67]
	v_add_f64 v[50:51], v[60:61], v[33:34]
	v_add_f64 v[54:55], v[16:17], v[14:15]
	v_add_f64 v[66:67], v[38:39], -v[20:21]
	v_add_f64 v[20:21], v[20:21], v[38:39]
	v_add_f64 v[14:15], v[14:15], -v[16:17]
	v_add_f64 v[16:17], v[33:34], -v[60:61]
	ds_write2_b64 v100, v[80:81], v[56:57] offset1:34
	ds_write2_b64 v100, v[62:63], v[64:65] offset0:68 offset1:102
	ds_write2_b64 v100, v[18:19], v[44:45] offset0:136 offset1:170
	;; [unrolled: 1-line block ×6, first 2 shown]
	v_add_f64 v[38:39], v[52:53], -v[42:43]
	v_add_f64 v[60:61], v[48:49], -v[2:3]
	v_add_f64 v[68:69], v[6:7], v[22:23]
	v_add_f64 v[70:71], v[22:23], -v[6:7]
	v_add_f64 v[48:49], v[2:3], v[48:49]
	v_add_f64 v[42:43], v[42:43], v[52:53]
	v_add_f64 v[52:53], v[12:13], -v[10:11]
	v_add_f64 v[72:73], v[40:41], -v[4:5]
	v_add_f64 v[74:75], v[8:9], v[35:36]
	v_add_f64 v[76:77], v[35:36], -v[8:9]
	v_add_f64 v[40:41], v[4:5], v[40:41]
	v_add_f64 v[78:79], v[10:11], v[12:13]
	s_waitcnt lgkmcnt(0)
	s_barrier
	buffer_gl0_inv
	ds_read2_b64 v[20:23], v103 offset0:110 offset1:144
	ds_read2_b64 v[8:11], v100 offset0:34 offset1:68
	;; [unrolled: 1-line block ×6, first 2 shown]
	ds_read_b64 v[33:34], v101
	ds_read_b64 v[35:36], v100 offset:3536
	s_waitcnt lgkmcnt(0)
	s_barrier
	buffer_gl0_inv
	ds_write2_b64 v100, v[86:87], v[38:39] offset1:34
	ds_write2_b64 v100, v[60:61], v[68:69] offset0:68 offset1:102
	ds_write2_b64 v100, v[70:71], v[48:49] offset0:136 offset1:170
	ds_write2_b64 v100, v[42:43], v[58:59] offset0:204 offset1:238
	ds_write2_b64 v102, v[52:53], v[72:73] offset0:16 offset1:50
	ds_write2_b64 v102, v[74:75], v[76:77] offset0:84 offset1:118
	ds_write2_b64 v102, v[40:41], v[78:79] offset0:152 offset1:186
	s_waitcnt lgkmcnt(0)
	s_barrier
	buffer_gl0_inv
	s_and_saveexec_b32 s0, vcc_lo
	s_cbranch_execz .LBB0_16
; %bb.15:
	v_mov_b32_e32 v27, v32
	v_mov_b32_e32 v29, v32
	;; [unrolled: 1-line block ×3, first 2 shown]
	v_add_nc_u32_e32 v111, 0xee, v94
	v_add_nc_u32_e32 v82, 0x800, v100
	v_lshlrev_b64 v[38:39], 4, v[26:27]
	v_lshlrev_b64 v[40:41], 4, v[28:29]
	;; [unrolled: 1-line block ×3, first 2 shown]
	v_add_nc_u32_e32 v86, 0x400, v100
	v_add_nc_u32_e32 v112, 0x110, v94
	v_mul_hi_u32 v105, 0x44d72045, v25
	v_add_co_u32 v27, vcc_lo, s12, v38
	v_add_co_ci_u32_e32 v29, vcc_lo, s13, v39, vcc_lo
	v_add_co_u32 v31, vcc_lo, s12, v40
	v_add_co_ci_u32_e32 v40, vcc_lo, s13, v41, vcc_lo
	;; [unrolled: 2-line block ×3, first 2 shown]
	v_add_co_u32 v42, vcc_lo, 0x800, v31
	v_mov_b32_e32 v31, v32
	v_add_co_ci_u32_e32 v43, vcc_lo, 0, v40, vcc_lo
	v_add_co_u32 v27, vcc_lo, s12, v46
	v_lshlrev_b64 v[31:32], 4, v[30:31]
	s_clause 0x1
	global_load_dwordx4 v[38:41], v[38:39], off offset:1488
	global_load_dwordx4 v[42:45], v[42:43], off offset:1488
	v_add_co_ci_u32_e32 v29, vcc_lo, s13, v47, vcc_lo
	v_mul_hi_u32 v106, 0x44d72045, v24
	v_mul_hi_u32 v107, 0x44d72045, v30
	v_add_co_u32 v54, vcc_lo, s12, v31
	v_add_co_ci_u32_e32 v55, vcc_lo, s13, v32, vcc_lo
	v_add_co_u32 v31, vcc_lo, 0x800, v27
	v_add_co_ci_u32_e32 v32, vcc_lo, 0, v29, vcc_lo
	;; [unrolled: 2-line block ×3, first 2 shown]
	s_clause 0x1
	global_load_dwordx4 v[46:49], v[31:32], off offset:2032
	global_load_dwordx4 v[50:53], v[31:32], off offset:1488
	v_add_co_u32 v31, vcc_lo, 0x800, v54
	v_add_co_ci_u32_e32 v32, vcc_lo, 0, v55, vcc_lo
	s_clause 0x2
	global_load_dwordx4 v[54:57], v[58:59], off offset:528
	global_load_dwordx4 v[58:61], v[58:59], off offset:1072
	;; [unrolled: 1-line block ×3, first 2 shown]
	v_mul_lo_u32 v27, s5, v96
	v_mul_lo_u32 v29, s4, v97
	v_mad_u64_u32 v[31:32], null, s4, v96, 0
	v_mad_u64_u32 v[97:98], null, s2, v94, 0
	ds_read2_b64 v[66:69], v100 offset0:170 offset1:204
	ds_read2_b64 v[70:73], v100 offset0:102 offset1:136
	;; [unrolled: 1-line block ×3, first 2 shown]
	ds_read_b64 v[90:91], v100 offset:3536
	ds_read_b64 v[95:96], v101
	v_mad_u64_u32 v[99:100], null, s2, v37, 0
	v_mul_hi_u32 v109, 0x44d72045, v26
	v_mad_u64_u32 v[101:102], null, s2, v111, 0
	v_add3_u32 v32, v32, v29, v27
	v_mul_hi_u32 v108, 0x44d72045, v28
	v_mad_u64_u32 v[103:104], null, s2, v112, 0
	v_mov_b32_e32 v27, v98
	v_mov_b32_e32 v29, v100
	v_lshrrev_b32_e32 v98, 6, v105
	v_lshlrev_b64 v[31:32], 4, v[31:32]
	v_lshrrev_b32_e32 v100, 6, v106
	v_lshrrev_b32_e32 v110, 6, v107
	;; [unrolled: 1-line block ×3, first 2 shown]
	v_mad_u64_u32 v[105:106], null, s3, v94, v[27:28]
	v_mov_b32_e32 v27, v102
	v_lshrrev_b32_e32 v113, 6, v108
	v_mad_u64_u32 v[106:107], null, s3, v37, v[29:30]
	v_mov_b32_e32 v29, v104
	v_mad_u64_u32 v[107:108], null, 0xee, v98, v[25:26]
	v_mad_u64_u32 v[24:25], null, 0xee, v100, v[24:25]
	;; [unrolled: 1-line block ×5, first 2 shown]
	v_lshlrev_b64 v[92:93], 4, v[92:93]
	v_add_co_u32 v37, vcc_lo, s10, v31
	v_mad_u64_u32 v[26:27], null, s3, v111, v[27:28]
	v_mov_b32_e32 v98, v105
	v_mov_b32_e32 v100, v106
	v_mad_u64_u32 v[105:106], null, s2, v108, 0
	v_mad_u64_u32 v[27:28], null, s3, v112, v[29:30]
	v_add_co_ci_u32_e32 v32, vcc_lo, s11, v32, vcc_lo
	v_add_nc_u32_e32 v124, 0xee, v24
	v_mad_u64_u32 v[112:113], null, s2, v25, 0
	v_add_nc_u32_e32 v127, 0xee, v25
	v_add_nc_u32_e32 v125, 0xee, v108
	;; [unrolled: 1-line block ×3, first 2 shown]
	v_add_co_u32 v131, vcc_lo, v37, v92
	v_add_nc_u32_e32 v123, 0xee, v107
	v_mad_u64_u32 v[30:31], null, s2, v24, 0
	v_mad_u64_u32 v[110:111], null, s2, v109, 0
	v_add_co_ci_u32_e32 v132, vcc_lo, v32, v93, vcc_lo
	v_lshlrev_b64 v[92:93], 4, v[97:98]
	v_lshlrev_b64 v[97:98], 4, v[99:100]
	v_mad_u64_u32 v[99:100], null, s2, v124, 0
	v_mad_u64_u32 v[118:119], null, s2, v127, 0
	;; [unrolled: 1-line block ×5, first 2 shown]
	v_mov_b32_e32 v32, v106
	v_mov_b32_e32 v94, v113
	;; [unrolled: 1-line block ×4, first 2 shown]
	v_mad_u64_u32 v[26:27], null, s2, v123, 0
	ds_read2_b64 v[78:81], v82 offset0:118 offset1:152
	ds_read2_b64 v[82:85], v82 offset0:50 offset1:84
	;; [unrolled: 1-line block ×3, first 2 shown]
	v_mad_u64_u32 v[120:121], null, s3, v24, v[31:32]
	v_mov_b32_e32 v37, v111
	v_mov_b32_e32 v24, v100
	s_waitcnt lgkmcnt(3)
	v_mad_u64_u32 v[121:122], null, s3, v25, v[94:95]
	v_mov_b32_e32 v25, v119
	v_mad_u64_u32 v[106:107], null, s3, v107, v[29:30]
	v_mov_b32_e32 v29, v115
	v_mov_b32_e32 v31, v117
	v_mad_u64_u32 v[107:108], null, s3, v108, v[32:33]
	v_mad_u64_u32 v[122:123], null, s3, v123, v[27:28]
	;; [unrolled: 1-line block ×6, first 2 shown]
	v_lshlrev_b64 v[101:102], 4, v[101:102]
	v_add_co_u32 v92, vcc_lo, v131, v92
	v_mov_b32_e32 v29, v106
	v_add_co_ci_u32_e32 v93, vcc_lo, v132, v93, vcc_lo
	v_lshlrev_b64 v[103:104], 4, v[103:104]
	v_add_co_u32 v97, vcc_lo, v131, v97
	v_add_co_ci_u32_e32 v98, vcc_lo, v132, v98, vcc_lo
	v_mov_b32_e32 v113, v121
	v_mov_b32_e32 v27, v122
	v_add_co_u32 v101, vcc_lo, v131, v101
	v_lshlrev_b64 v[28:29], 4, v[28:29]
	v_mov_b32_e32 v115, v124
	v_mov_b32_e32 v117, v125
	;; [unrolled: 1-line block ×3, first 2 shown]
	v_add_co_ci_u32_e32 v102, vcc_lo, v132, v102, vcc_lo
	v_add_co_u32 v103, vcc_lo, v131, v103
	v_mov_b32_e32 v106, v107
	v_add_co_ci_u32_e32 v104, vcc_lo, v132, v104, vcc_lo
	v_mov_b32_e32 v31, v120
	v_mov_b32_e32 v100, v123
	v_lshlrev_b64 v[105:106], 4, v[105:106]
	v_lshlrev_b64 v[30:31], 4, v[30:31]
	;; [unrolled: 1-line block ×3, first 2 shown]
	s_waitcnt vmcnt(6)
	v_mad_u64_u32 v[108:109], null, s3, v109, v[37:38]
	v_mul_f64 v[24:25], v[35:36], v[40:41]
	v_mov_b32_e32 v111, v108
	v_lshlrev_b64 v[107:108], 4, v[110:111]
	v_lshlrev_b64 v[109:110], 4, v[112:113]
	;; [unrolled: 1-line block ×3, first 2 shown]
	v_mul_f64 v[26:27], v[90:91], v[40:41]
	v_lshlrev_b64 v[113:114], 4, v[114:115]
	s_waitcnt vmcnt(3)
	v_mul_f64 v[40:41], v[20:21], v[52:53]
	s_waitcnt lgkmcnt(0)
	v_mul_f64 v[52:53], v[86:87], v[52:53]
	v_lshlrev_b64 v[115:116], 4, v[116:117]
	v_lshlrev_b64 v[117:118], 4, v[118:119]
	v_add_co_u32 v119, vcc_lo, v131, v28
	v_mul_f64 v[121:122], v[22:23], v[48:49]
	v_mul_f64 v[48:49], v[88:89], v[48:49]
	v_add_co_ci_u32_e32 v120, vcc_lo, v132, v29, vcc_lo
	v_mul_f64 v[28:29], v[14:15], v[44:45]
	s_waitcnt vmcnt(2)
	v_mul_f64 v[123:124], v[16:17], v[56:57]
	v_mul_f64 v[56:57], v[82:83], v[56:57]
	s_waitcnt vmcnt(1)
	v_mul_f64 v[125:126], v[18:19], v[60:61]
	;; [unrolled: 3-line block ×3, first 2 shown]
	v_mul_f64 v[64:65], v[78:79], v[64:65]
	v_mul_f64 v[44:45], v[80:81], v[44:45]
	v_add_co_u32 v129, vcc_lo, v131, v30
	v_add_co_ci_u32_e32 v130, vcc_lo, v132, v31, vcc_lo
	v_fma_f64 v[30:31], v[86:87], v[50:51], v[40:41]
	v_fma_f64 v[20:21], v[20:21], v[50:51], -v[52:53]
	v_fma_f64 v[24:25], v[90:91], v[38:39], v[24:25]
	v_fma_f64 v[26:27], v[35:36], v[38:39], -v[26:27]
	v_add_co_u32 v105, vcc_lo, v131, v105
	v_fma_f64 v[35:36], v[88:89], v[46:47], v[121:122]
	v_fma_f64 v[37:38], v[22:23], v[46:47], -v[48:49]
	v_add_co_ci_u32_e32 v106, vcc_lo, v132, v106, vcc_lo
	v_fma_f64 v[28:29], v[80:81], v[42:43], v[28:29]
	v_fma_f64 v[39:40], v[82:83], v[54:55], v[123:124]
	v_fma_f64 v[16:17], v[16:17], v[54:55], -v[56:57]
	v_fma_f64 v[46:47], v[84:85], v[58:59], v[125:126]
	v_fma_f64 v[48:49], v[18:19], v[58:59], -v[60:61]
	;; [unrolled: 2-line block ×3, first 2 shown]
	v_fma_f64 v[43:44], v[14:15], v[42:43], -v[44:45]
	v_add_co_u32 v63, vcc_lo, v131, v107
	v_add_co_ci_u32_e32 v64, vcc_lo, v132, v108, vcc_lo
	v_add_f64 v[22:23], v[95:96], -v[30:31]
	v_add_f64 v[20:21], v[33:34], -v[20:21]
	;; [unrolled: 1-line block ×4, first 2 shown]
	v_add_co_u32 v78, vcc_lo, v131, v109
	v_add_f64 v[26:27], v[74:75], -v[35:36]
	v_add_f64 v[24:25], v[8:9], -v[37:38]
	v_add_co_ci_u32_e32 v79, vcc_lo, v132, v110, vcc_lo
	v_add_f64 v[18:19], v[66:67], -v[28:29]
	v_add_f64 v[30:31], v[76:77], -v[39:40]
	v_add_f64 v[28:29], v[10:11], -v[16:17]
	v_add_f64 v[37:38], v[70:71], -v[46:47]
	v_add_f64 v[35:36], v[0:1], -v[48:49]
	v_add_f64 v[41:42], v[72:73], -v[50:51]
	v_add_f64 v[39:40], v[2:3], -v[52:53]
	v_add_f64 v[16:17], v[4:5], -v[43:44]
	v_add_co_u32 v80, vcc_lo, v131, v111
	v_add_co_ci_u32_e32 v81, vcc_lo, v132, v112, vcc_lo
	v_fma_f64 v[49:50], v[95:96], 2.0, -v[22:23]
	v_fma_f64 v[47:48], v[33:34], 2.0, -v[20:21]
	v_add_co_u32 v82, vcc_lo, v131, v99
	v_fma_f64 v[43:44], v[6:7], 2.0, -v[12:13]
	v_fma_f64 v[45:46], v[68:69], 2.0, -v[14:15]
	;; [unrolled: 1-line block ×4, first 2 shown]
	v_add_co_ci_u32_e32 v83, vcc_lo, v132, v100, vcc_lo
	v_fma_f64 v[6:7], v[66:67], 2.0, -v[18:19]
	v_fma_f64 v[57:58], v[76:77], 2.0, -v[30:31]
	;; [unrolled: 1-line block ×8, first 2 shown]
	v_add_co_u32 v0, vcc_lo, v131, v113
	v_add_co_ci_u32_e32 v1, vcc_lo, v132, v114, vcc_lo
	v_add_co_u32 v2, vcc_lo, v131, v115
	v_add_co_ci_u32_e32 v3, vcc_lo, v132, v116, vcc_lo
	;; [unrolled: 2-line block ×3, first 2 shown]
	global_store_dwordx4 v[92:93], v[47:50], off
	global_store_dwordx4 v[101:102], v[20:23], off
	;; [unrolled: 1-line block ×14, first 2 shown]
.LBB0_16:
	s_endpgm
	.section	.rodata,"a",@progbits
	.p2align	6, 0x0
	.amdhsa_kernel fft_rtc_fwd_len476_factors_17_2_7_2_wgs_102_tpt_34_halfLds_dp_op_CI_CI_sbrr_dirReg
		.amdhsa_group_segment_fixed_size 0
		.amdhsa_private_segment_fixed_size 0
		.amdhsa_kernarg_size 104
		.amdhsa_user_sgpr_count 6
		.amdhsa_user_sgpr_private_segment_buffer 1
		.amdhsa_user_sgpr_dispatch_ptr 0
		.amdhsa_user_sgpr_queue_ptr 0
		.amdhsa_user_sgpr_kernarg_segment_ptr 1
		.amdhsa_user_sgpr_dispatch_id 0
		.amdhsa_user_sgpr_flat_scratch_init 0
		.amdhsa_user_sgpr_private_segment_size 0
		.amdhsa_wavefront_size32 1
		.amdhsa_uses_dynamic_stack 0
		.amdhsa_system_sgpr_private_segment_wavefront_offset 0
		.amdhsa_system_sgpr_workgroup_id_x 1
		.amdhsa_system_sgpr_workgroup_id_y 0
		.amdhsa_system_sgpr_workgroup_id_z 0
		.amdhsa_system_sgpr_workgroup_info 0
		.amdhsa_system_vgpr_workitem_id 0
		.amdhsa_next_free_vgpr 249
		.amdhsa_next_free_sgpr 58
		.amdhsa_reserve_vcc 1
		.amdhsa_reserve_flat_scratch 0
		.amdhsa_float_round_mode_32 0
		.amdhsa_float_round_mode_16_64 0
		.amdhsa_float_denorm_mode_32 3
		.amdhsa_float_denorm_mode_16_64 3
		.amdhsa_dx10_clamp 1
		.amdhsa_ieee_mode 1
		.amdhsa_fp16_overflow 0
		.amdhsa_workgroup_processor_mode 1
		.amdhsa_memory_ordered 1
		.amdhsa_forward_progress 0
		.amdhsa_shared_vgpr_count 0
		.amdhsa_exception_fp_ieee_invalid_op 0
		.amdhsa_exception_fp_denorm_src 0
		.amdhsa_exception_fp_ieee_div_zero 0
		.amdhsa_exception_fp_ieee_overflow 0
		.amdhsa_exception_fp_ieee_underflow 0
		.amdhsa_exception_fp_ieee_inexact 0
		.amdhsa_exception_int_div_zero 0
	.end_amdhsa_kernel
	.text
.Lfunc_end0:
	.size	fft_rtc_fwd_len476_factors_17_2_7_2_wgs_102_tpt_34_halfLds_dp_op_CI_CI_sbrr_dirReg, .Lfunc_end0-fft_rtc_fwd_len476_factors_17_2_7_2_wgs_102_tpt_34_halfLds_dp_op_CI_CI_sbrr_dirReg
                                        ; -- End function
	.section	.AMDGPU.csdata,"",@progbits
; Kernel info:
; codeLenInByte = 14568
; NumSgprs: 60
; NumVgprs: 249
; ScratchSize: 0
; MemoryBound: 1
; FloatMode: 240
; IeeeMode: 1
; LDSByteSize: 0 bytes/workgroup (compile time only)
; SGPRBlocks: 7
; VGPRBlocks: 31
; NumSGPRsForWavesPerEU: 60
; NumVGPRsForWavesPerEU: 249
; Occupancy: 4
; WaveLimiterHint : 1
; COMPUTE_PGM_RSRC2:SCRATCH_EN: 0
; COMPUTE_PGM_RSRC2:USER_SGPR: 6
; COMPUTE_PGM_RSRC2:TRAP_HANDLER: 0
; COMPUTE_PGM_RSRC2:TGID_X_EN: 1
; COMPUTE_PGM_RSRC2:TGID_Y_EN: 0
; COMPUTE_PGM_RSRC2:TGID_Z_EN: 0
; COMPUTE_PGM_RSRC2:TIDIG_COMP_CNT: 0
	.text
	.p2alignl 6, 3214868480
	.fill 48, 4, 3214868480
	.type	__hip_cuid_284b3f9d95ebc893,@object ; @__hip_cuid_284b3f9d95ebc893
	.section	.bss,"aw",@nobits
	.globl	__hip_cuid_284b3f9d95ebc893
__hip_cuid_284b3f9d95ebc893:
	.byte	0                               ; 0x0
	.size	__hip_cuid_284b3f9d95ebc893, 1

	.ident	"AMD clang version 19.0.0git (https://github.com/RadeonOpenCompute/llvm-project roc-6.4.0 25133 c7fe45cf4b819c5991fe208aaa96edf142730f1d)"
	.section	".note.GNU-stack","",@progbits
	.addrsig
	.addrsig_sym __hip_cuid_284b3f9d95ebc893
	.amdgpu_metadata
---
amdhsa.kernels:
  - .args:
      - .actual_access:  read_only
        .address_space:  global
        .offset:         0
        .size:           8
        .value_kind:     global_buffer
      - .offset:         8
        .size:           8
        .value_kind:     by_value
      - .actual_access:  read_only
        .address_space:  global
        .offset:         16
        .size:           8
        .value_kind:     global_buffer
      - .actual_access:  read_only
        .address_space:  global
        .offset:         24
        .size:           8
        .value_kind:     global_buffer
      - .actual_access:  read_only
        .address_space:  global
        .offset:         32
        .size:           8
        .value_kind:     global_buffer
      - .offset:         40
        .size:           8
        .value_kind:     by_value
      - .actual_access:  read_only
        .address_space:  global
        .offset:         48
        .size:           8
        .value_kind:     global_buffer
      - .actual_access:  read_only
        .address_space:  global
        .offset:         56
        .size:           8
        .value_kind:     global_buffer
      - .offset:         64
        .size:           4
        .value_kind:     by_value
      - .actual_access:  read_only
        .address_space:  global
        .offset:         72
        .size:           8
        .value_kind:     global_buffer
      - .actual_access:  read_only
        .address_space:  global
        .offset:         80
        .size:           8
        .value_kind:     global_buffer
      - .actual_access:  read_only
        .address_space:  global
        .offset:         88
        .size:           8
        .value_kind:     global_buffer
      - .actual_access:  write_only
        .address_space:  global
        .offset:         96
        .size:           8
        .value_kind:     global_buffer
    .group_segment_fixed_size: 0
    .kernarg_segment_align: 8
    .kernarg_segment_size: 104
    .language:       OpenCL C
    .language_version:
      - 2
      - 0
    .max_flat_workgroup_size: 102
    .name:           fft_rtc_fwd_len476_factors_17_2_7_2_wgs_102_tpt_34_halfLds_dp_op_CI_CI_sbrr_dirReg
    .private_segment_fixed_size: 0
    .sgpr_count:     60
    .sgpr_spill_count: 0
    .symbol:         fft_rtc_fwd_len476_factors_17_2_7_2_wgs_102_tpt_34_halfLds_dp_op_CI_CI_sbrr_dirReg.kd
    .uniform_work_group_size: 1
    .uses_dynamic_stack: false
    .vgpr_count:     249
    .vgpr_spill_count: 0
    .wavefront_size: 32
    .workgroup_processor_mode: 1
amdhsa.target:   amdgcn-amd-amdhsa--gfx1030
amdhsa.version:
  - 1
  - 2
...

	.end_amdgpu_metadata
